;; amdgpu-corpus repo=ROCm/rocFFT kind=compiled arch=gfx1030 opt=O3
	.text
	.amdgcn_target "amdgcn-amd-amdhsa--gfx1030"
	.amdhsa_code_object_version 6
	.protected	bluestein_single_back_len1445_dim1_sp_op_CI_CI ; -- Begin function bluestein_single_back_len1445_dim1_sp_op_CI_CI
	.globl	bluestein_single_back_len1445_dim1_sp_op_CI_CI
	.p2align	8
	.type	bluestein_single_back_len1445_dim1_sp_op_CI_CI,@function
bluestein_single_back_len1445_dim1_sp_op_CI_CI: ; @bluestein_single_back_len1445_dim1_sp_op_CI_CI
; %bb.0:
	s_load_dwordx4 s[12:15], s[4:5], 0x28
	v_mul_u32_u24_e32 v1, 0x304, v0
	v_mov_b32_e32 v99, 0
	s_mov_b32 s0, exec_lo
	v_lshrrev_b32_e32 v1, 16, v1
	v_add_nc_u32_e32 v98, s6, v1
	s_waitcnt lgkmcnt(0)
	v_cmpx_gt_u64_e64 s[12:13], v[98:99]
	s_cbranch_execz .LBB0_10
; %bb.1:
	s_clause 0x1
	s_load_dwordx4 s[8:11], s[4:5], 0x18
	s_load_dwordx4 s[0:3], s[4:5], 0x0
	v_mul_lo_u16 v1, 0x55, v1
	s_load_dwordx2 s[4:5], s[4:5], 0x38
	v_sub_nc_u16 v66, v0, v1
	v_and_b32_e32 v140, 0xffff, v66
	v_lshlrev_b32_e32 v139, 3, v140
	s_waitcnt lgkmcnt(0)
	s_load_dwordx4 s[16:19], s[8:9], 0x0
	s_clause 0x3
	global_load_dwordx2 v[111:112], v139, s[0:1]
	global_load_dwordx2 v[109:110], v139, s[0:1] offset:680
	global_load_dwordx2 v[103:104], v139, s[0:1] offset:1360
	global_load_dwordx2 v[107:108], v139, s[0:1] offset:2040
	v_add_co_u32 v151, s0, s0, v139
	v_add_co_ci_u32_e64 v152, null, s1, 0, s0
	v_add_nc_u32_e32 v48, 0x800, v139
	v_add_co_u32 v4, vcc_lo, 0x800, v151
	v_add_co_ci_u32_e32 v5, vcc_lo, 0, v152, vcc_lo
	v_add_co_u32 v6, vcc_lo, 0x1000, v151
	v_add_co_ci_u32_e32 v7, vcc_lo, 0, v152, vcc_lo
	s_clause 0x5
	global_load_dwordx2 v[125:126], v[4:5], off offset:672
	global_load_dwordx2 v[123:124], v[4:5], off offset:1352
	;; [unrolled: 1-line block ×6, first 2 shown]
	s_waitcnt lgkmcnt(0)
	v_mad_u64_u32 v[0:1], null, s18, v98, 0
	v_mad_u64_u32 v[2:3], null, s16, v140, 0
	s_mul_i32 s0, s17, 0x2a8
	s_mul_hi_u32 s1, s16, 0x2a8
	s_mul_i32 s6, s16, 0x2a8
	s_add_i32 s1, s1, s0
	v_add_nc_u32_e32 v40, 0x1000, v139
	v_add_nc_u32_e32 v49, 0x1c00, v139
	v_mad_u64_u32 v[8:9], null, s19, v98, v[1:2]
	v_mad_u64_u32 v[11:12], null, s17, v140, v[3:4]
	v_add_co_u32 v9, vcc_lo, 0x1800, v151
	v_add_co_ci_u32_e32 v10, vcc_lo, 0, v152, vcc_lo
	v_mov_b32_e32 v1, v8
	v_add_co_u32 v12, vcc_lo, 0x2000, v151
	v_mov_b32_e32 v3, v11
	v_add_co_ci_u32_e32 v13, vcc_lo, 0, v152, vcc_lo
	v_lshlrev_b64 v[0:1], 3, v[0:1]
	v_add_co_u32 v68, vcc_lo, 0x2800, v151
	v_add_co_ci_u32_e32 v69, vcc_lo, 0, v152, vcc_lo
	v_lshlrev_b64 v[2:3], 3, v[2:3]
	v_add_co_u32 v0, vcc_lo, s14, v0
	v_add_co_ci_u32_e32 v1, vcc_lo, s15, v1, vcc_lo
	s_clause 0x2
	global_load_dwordx2 v[115:116], v[9:10], off offset:656
	global_load_dwordx2 v[105:106], v[9:10], off offset:1336
	;; [unrolled: 1-line block ×3, first 2 shown]
	v_add_co_u32 v0, vcc_lo, v0, v2
	v_add_co_ci_u32_e32 v1, vcc_lo, v1, v3, vcc_lo
	s_clause 0x1
	global_load_dwordx2 v[96:97], v[12:13], off offset:648
	global_load_dwordx2 v[92:93], v[12:13], off offset:1328
	v_add_co_u32 v2, vcc_lo, v0, s6
	v_add_co_ci_u32_e32 v3, vcc_lo, s1, v1, vcc_lo
	v_add_nc_u32_e32 v50, 0x2000, v139
	v_add_co_u32 v4, vcc_lo, v2, s6
	v_add_co_ci_u32_e32 v5, vcc_lo, s1, v3, vcc_lo
	v_add_co_u32 v6, vcc_lo, v4, s6
	v_add_co_ci_u32_e32 v7, vcc_lo, s1, v5, vcc_lo
	;; [unrolled: 2-line block ×3, first 2 shown]
	s_clause 0x3
	global_load_dwordx2 v[0:1], v[0:1], off
	global_load_dwordx2 v[2:3], v[2:3], off
	;; [unrolled: 1-line block ×4, first 2 shown]
	v_add_co_u32 v10, vcc_lo, v8, s6
	v_add_co_ci_u32_e32 v11, vcc_lo, s1, v9, vcc_lo
	global_load_dwordx2 v[14:15], v[8:9], off
	v_add_co_u32 v8, vcc_lo, v10, s6
	v_add_co_ci_u32_e32 v9, vcc_lo, s1, v11, vcc_lo
	global_load_dwordx2 v[10:11], v[10:11], off
	;; [unrolled: 3-line block ×11, first 2 shown]
	v_add_co_u32 v8, vcc_lo, v20, s6
	v_add_co_ci_u32_e32 v9, vcc_lo, s1, v21, vcc_lo
	global_load_dwordx2 v[99:100], v[12:13], off offset:2008
	global_load_dwordx2 v[12:13], v[20:21], off
	global_load_dwordx2 v[101:102], v[68:69], off offset:640
	global_load_dwordx2 v[36:37], v[8:9], off
	v_add_nc_u32_e32 v8, 0xc00, v139
	v_add_nc_u32_e32 v20, 0x1800, v139
	s_load_dwordx4 s[8:11], s[10:11], 0x0
	v_cmp_gt_u16_e32 vcc_lo, 34, v66
	s_waitcnt vmcnt(18)
	v_mul_f32_e32 v38, v1, v112
	v_mul_f32_e32 v9, v0, v112
	s_waitcnt vmcnt(17)
	v_mul_f32_e32 v41, v3, v110
	s_waitcnt vmcnt(15)
	v_mul_f32_e32 v21, v6, v108
	v_fmac_f32_e32 v38, v0, v111
	v_fma_f32 v39, v1, v111, -v9
	v_mul_f32_e32 v1, v2, v110
	v_fmac_f32_e32 v41, v2, v109
	v_mul_f32_e32 v0, v5, v104
	v_mul_f32_e32 v9, v4, v104
	;; [unrolled: 1-line block ×3, first 2 shown]
	v_fma_f32 v42, v3, v109, -v1
	v_fma_f32 v3, v7, v107, -v21
	v_fmac_f32_e32 v0, v4, v103
	v_fma_f32 v1, v5, v103, -v9
	v_fmac_f32_e32 v2, v6, v107
	s_waitcnt vmcnt(14)
	v_mul_f32_e32 v4, v15, v126
	v_mul_f32_e32 v5, v14, v126
	ds_write2_b64 v139, v[38:39], v[41:42] offset1:85
	s_waitcnt vmcnt(13)
	v_mul_f32_e32 v6, v11, v124
	ds_write2_b64 v139, v[0:1], v[2:3] offset0:170 offset1:255
	v_mul_f32_e32 v1, v10, v124
	s_waitcnt vmcnt(12)
	v_mul_f32_e32 v0, v19, v122
	v_mul_f32_e32 v3, v18, v122
	s_waitcnt vmcnt(11)
	v_mul_f32_e32 v2, v17, v120
	v_mul_f32_e32 v9, v16, v120
	v_fmac_f32_e32 v4, v14, v125
	v_fma_f32 v5, v15, v125, -v5
	v_fmac_f32_e32 v6, v10, v123
	v_fma_f32 v7, v11, v123, -v1
	;; [unrolled: 2-line block ×4, first 2 shown]
	ds_write2_b64 v48, v[4:5], v[6:7] offset0:84 offset1:169
	s_waitcnt vmcnt(10)
	v_mul_f32_e32 v9, v23, v118
	v_mul_f32_e32 v10, v22, v118
	s_waitcnt vmcnt(9)
	v_mul_f32_e32 v4, v25, v114
	ds_write2_b64 v8, v[0:1], v[2:3] offset0:126 offset1:211
	v_mul_f32_e32 v1, v24, v114
	s_waitcnt vmcnt(8)
	v_mul_f32_e32 v3, v26, v116
	v_mul_f32_e32 v0, v27, v116
	s_waitcnt vmcnt(7)
	v_mul_f32_e32 v7, v28, v106
	v_mul_f32_e32 v2, v29, v106
	v_fma_f32 v5, v25, v113, -v1
	v_fma_f32 v1, v27, v115, -v3
	v_fmac_f32_e32 v9, v22, v117
	s_waitcnt vmcnt(6)
	v_mul_f32_e32 v6, v31, v95
	v_fma_f32 v3, v29, v105, -v7
	v_mul_f32_e32 v7, v30, v95
	v_fma_f32 v10, v23, v117, -v10
	v_fmac_f32_e32 v4, v24, v113
	s_waitcnt vmcnt(5)
	v_mul_f32_e32 v11, v32, v97
	v_mul_f32_e32 v14, v33, v97
	v_fmac_f32_e32 v0, v26, v115
	v_fmac_f32_e32 v2, v28, v105
	;; [unrolled: 1-line block ×3, first 2 shown]
	s_waitcnt vmcnt(4)
	v_mul_f32_e32 v16, v35, v93
	v_fma_f32 v15, v33, v96, -v11
	v_mul_f32_e32 v17, v34, v93
	s_waitcnt vmcnt(2)
	v_mul_f32_e32 v11, v13, v100
	v_mul_f32_e32 v19, v12, v100
	s_waitcnt vmcnt(0)
	v_mul_f32_e32 v18, v37, v102
	v_mul_f32_e32 v21, v36, v102
	v_fma_f32 v7, v31, v94, -v7
	v_fmac_f32_e32 v14, v32, v96
	v_fmac_f32_e32 v16, v34, v92
	v_fma_f32 v17, v35, v92, -v17
	v_fmac_f32_e32 v11, v12, v99
	v_fma_f32 v12, v13, v99, -v19
	;; [unrolled: 2-line block ×3, first 2 shown]
	ds_write2_b64 v40, v[9:10], v[4:5] offset0:168 offset1:253
	ds_write2_b64 v20, v[0:1], v[2:3] offset0:82 offset1:167
	;; [unrolled: 1-line block ×4, first 2 shown]
	ds_write_b64 v139, v[18:19] offset:10880
	s_waitcnt lgkmcnt(0)
	s_barrier
	buffer_gl0_inv
	ds_read2_b64 v[4:7], v139 offset1:85
	ds_read_b64 v[32:33], v139 offset:10880
	ds_read2_b64 v[12:15], v139 offset0:170 offset1:255
	ds_read2_b64 v[0:3], v50 offset0:166 offset1:251
	;; [unrolled: 1-line block ×7, first 2 shown]
	s_waitcnt lgkmcnt(0)
	s_barrier
	buffer_gl0_inv
	v_add_f32_e32 v35, v5, v7
	v_add_f32_e32 v34, v4, v6
	v_add_f32_e32 v36, v32, v6
	v_add_f32_e32 v39, v3, v13
	v_sub_f32_e32 v42, v13, v3
	v_add_f32_e32 v13, v35, v13
	v_add_f32_e32 v38, v2, v12
	v_sub_f32_e32 v41, v12, v2
	v_add_f32_e32 v12, v34, v12
	v_add_f32_e32 v37, v33, v7
	v_add_f32_e32 v13, v13, v15
	v_sub_f32_e32 v6, v6, v32
	v_sub_f32_e32 v7, v7, v33
	v_add_f32_e32 v12, v12, v14
	v_add_f32_e32 v43, v0, v14
	;; [unrolled: 1-line block ×3, first 2 shown]
	v_mul_f32_e32 v35, 0xbeb8f4ab, v6
	v_mul_f32_e32 v34, 0xbeb8f4ab, v7
	v_add_f32_e32 v12, v12, v24
	v_mul_f32_e32 v54, 0xbf2c7751, v7
	v_add_f32_e32 v13, v13, v27
	v_mul_f32_e32 v55, 0xbf2c7751, v6
	v_mul_f32_e32 v56, 0xbf65296c, v7
	v_add_f32_e32 v12, v12, v26
	v_mul_f32_e32 v57, 0xbf65296c, v6
	v_add_f32_e32 v13, v13, v17
	;; [unrolled: 5-line block ×4, first 2 shown]
	v_add_f32_e32 v44, v1, v15
	v_sub_f32_e32 v45, v14, v0
	v_add_f32_e32 v12, v12, v8
	v_sub_f32_e32 v46, v15, v1
	v_add_f32_e32 v13, v13, v11
	v_mul_f32_e32 v61, 0xbf763a35, v6
	v_mul_f32_e32 v63, 0xbf4c4adb, v6
	;; [unrolled: 1-line block ×16, first 2 shown]
	v_fma_f32 v14, 0x3f6eb680, v36, -v34
	v_fmac_f32_e32 v34, 0x3f6eb680, v36
	v_fma_f32 v15, 0x3f3d2fb0, v36, -v54
	v_fmac_f32_e32 v54, 0x3f3d2fb0, v36
	v_fma_f32 v146, 0x3ee437d1, v36, -v56
	v_fmac_f32_e32 v56, 0x3ee437d1, v36
	v_fma_f32 v147, 0x3dbcf732, v36, -v58
	v_fmac_f32_e32 v58, 0x3dbcf732, v36
	v_fma_f32 v148, 0xbe8c1d8e, v36, -v60
	v_fmac_f32_e32 v60, 0xbe8c1d8e, v36
	v_fma_f32 v149, 0xbf1a4643, v36, -v62
	v_fmac_f32_e32 v62, 0xbf1a4643, v36
	v_fma_f32 v150, 0xbf59a7d5, v36, -v64
	v_fmac_f32_e32 v64, 0xbf59a7d5, v36
	v_fma_f32 v153, 0xbf7ba420, v36, -v7
	v_fmac_f32_e32 v7, 0xbf7ba420, v36
	v_fmamk_f32 v36, v37, 0x3f6eb680, v35
	v_fmamk_f32 v154, v37, 0x3f3d2fb0, v55
	v_fma_f32 v55, 0x3f3d2fb0, v37, -v55
	v_fmamk_f32 v155, v37, 0x3ee437d1, v57
	v_fma_f32 v57, 0x3ee437d1, v37, -v57
	v_fmamk_f32 v156, v37, 0x3dbcf732, v59
	v_add_f32_e32 v12, v12, v10
	v_add_f32_e32 v13, v13, v21
	v_sub_f32_e32 v47, v25, v31
	v_mul_f32_e32 v80, 0x3f06c442, v41
	v_mul_f32_e32 v81, 0x3f763a35, v41
	;; [unrolled: 1-line block ×15, first 2 shown]
	v_fma_f32 v35, 0x3f6eb680, v37, -v35
	v_fma_f32 v59, 0x3dbcf732, v37, -v59
	v_fmamk_f32 v157, v37, 0xbe8c1d8e, v61
	v_fma_f32 v61, 0xbe8c1d8e, v37, -v61
	v_fmamk_f32 v158, v37, 0xbf1a4643, v63
	;; [unrolled: 2-line block ×4, first 2 shown]
	v_fma_f32 v6, 0xbf7ba420, v37, -v6
	v_fma_f32 v37, 0x3f3d2fb0, v38, -v67
	v_fmac_f32_e32 v67, 0x3f3d2fb0, v38
	v_fma_f32 v161, 0x3dbcf732, v38, -v70
	v_fmac_f32_e32 v70, 0x3dbcf732, v38
	;; [unrolled: 2-line block ×8, first 2 shown]
	v_fmamk_f32 v38, v39, 0x3f3d2fb0, v76
	v_fmamk_f32 v168, v39, 0x3dbcf732, v77
	v_fma_f32 v77, 0x3dbcf732, v39, -v77
	v_fmamk_f32 v169, v39, 0xbf1a4643, v78
	v_fma_f32 v78, 0xbf1a4643, v39, -v78
	v_fmamk_f32 v170, v39, 0xbf7ba420, v79
	v_add_f32_e32 v14, v4, v14
	v_add_f32_e32 v36, v5, v36
	;; [unrolled: 1-line block ×14, first 2 shown]
	v_sub_f32_e32 v52, v24, v30
	v_add_f32_e32 v53, v31, v25
	v_mul_f32_e32 v134, 0xbe3c28d5, v47
	v_mul_f32_e32 v136, 0x3f763a35, v47
	;; [unrolled: 1-line block ×3, first 2 shown]
	v_fma_f32 v76, 0x3f3d2fb0, v39, -v76
	v_fma_f32 v79, 0xbf7ba420, v39, -v79
	v_fmamk_f32 v171, v39, 0xbf59a7d5, v80
	v_fma_f32 v80, 0xbf59a7d5, v39, -v80
	v_fmamk_f32 v172, v39, 0xbe8c1d8e, v81
	;; [unrolled: 2-line block ×4, first 2 shown]
	v_fma_f32 v39, 0x3f6eb680, v39, -v41
	v_fma_f32 v41, 0x3ee437d1, v43, -v83
	v_fmac_f32_e32 v83, 0x3ee437d1, v43
	v_fma_f32 v175, 0xbf1a4643, v43, -v84
	v_fmac_f32_e32 v84, 0xbf1a4643, v43
	;; [unrolled: 2-line block ×8, first 2 shown]
	v_fmamk_f32 v43, v44, 0x3ee437d1, v90
	v_fmamk_f32 v182, v44, 0xbf1a4643, v91
	v_fma_f32 v91, 0xbf1a4643, v44, -v91
	v_fmamk_f32 v184, v44, 0xbe8c1d8e, v128
	v_add_f32_e32 v34, v4, v34
	v_add_f32_e32 v35, v5, v35
	;; [unrolled: 1-line block ×25, first 2 shown]
	v_mul_f32_e32 v127, 0x3e3c28d5, v45
	v_mul_f32_e32 v129, 0x3f2c7751, v45
	;; [unrolled: 1-line block ×8, first 2 shown]
	v_fma_f32 v128, 0xbe8c1d8e, v44, -v128
	v_fma_f32 v38, 0xbf7ba420, v51, -v134
	v_fmac_f32_e32 v134, 0xbf7ba420, v51
	v_add_f32_e32 v35, v76, v35
	v_fma_f32 v76, 0xbe8c1d8e, v51, -v136
	v_add_f32_e32 v154, v168, v154
	v_fma_f32 v168, 0x3f6eb680, v51, -v138
	v_fmac_f32_e32 v138, 0x3f6eb680, v51
	v_add_f32_e32 v59, v79, v59
	v_add_f32_e32 v71, v164, v148
	v_add_f32_e32 v4, v42, v4
	v_add_f32_e32 v14, v41, v14
	v_add_f32_e32 v36, v43, v36
	v_add_f32_e32 v15, v175, v15
	v_add_f32_e32 v41, v84, v54
	v_add_f32_e32 v42, v91, v55
	v_add_f32_e32 v43, v176, v146
	v_add_f32_e32 v55, v177, v56
	v_add_f32_e32 v56, v184, v57
	v_add_f32_e32 v57, v86, v58
	v_add_f32_e32 v12, v12, v28
	v_add_f32_e32 v13, v13, v31
	v_mul_f32_e32 v144, 0xbf06c442, v47
	v_fma_f32 v90, 0x3ee437d1, v44, -v90
	v_fmamk_f32 v183, v44, 0xbf7ba420, v127
	v_fma_f32 v127, 0xbf7ba420, v44, -v127
	v_add_f32_e32 v155, v5, v155
	v_add_f32_e32 v157, v5, v157
	;; [unrolled: 1-line block ×9, first 2 shown]
	v_fmamk_f32 v6, v44, 0x3f3d2fb0, v129
	v_fma_f32 v7, 0x3f3d2fb0, v44, -v129
	v_fmamk_f32 v129, v44, 0x3f6eb680, v130
	v_fma_f32 v130, 0x3f6eb680, v44, -v130
	;; [unrolled: 2-line block ×4, first 2 shown]
	v_fma_f32 v45, 0x3dbcf732, v51, -v132
	v_fmamk_f32 v70, v53, 0x3f6eb680, v141
	v_fma_f32 v77, 0x3ee437d1, v51, -v142
	v_add_f32_e32 v58, v128, v59
	v_add_f32_e32 v59, v178, v71
	v_add_f32_e32 v15, v38, v15
	v_add_f32_e32 v38, v134, v41
	v_add_f32_e32 v41, v76, v43
	v_add_f32_e32 v12, v12, v30
	v_add_f32_e32 v1, v13, v1
	v_add_f32_e32 v31, v138, v57
	v_mul_f32_e32 v43, 0x3f4c4adb, v47
	v_mul_f32_e32 v47, 0x3f2c7751, v47
	v_sub_f32_e32 v57, v27, v29
	v_mul_f32_e32 v133, 0xbf7ee86f, v52
	v_mul_f32_e32 v135, 0xbe3c28d5, v52
	;; [unrolled: 1-line block ×5, first 2 shown]
	v_fmac_f32_e32 v132, 0x3dbcf732, v51
	v_fmac_f32_e32 v136, 0xbe8c1d8e, v51
	v_fma_f32 v141, 0x3f6eb680, v53, -v141
	v_fmac_f32_e32 v142, 0x3ee437d1, v51
	v_add_f32_e32 v155, v169, v155
	v_fma_f32 v169, 0xbf59a7d5, v51, -v144
	v_add_f32_e32 v5, v39, v5
	v_add_f32_e32 v4, v46, v4
	;; [unrolled: 1-line block ×7, first 2 shown]
	v_fmac_f32_e32 v144, 0xbf59a7d5, v51
	v_mul_f32_e32 v45, 0x3f4c4adb, v52
	v_fma_f32 v46, 0xbf1a4643, v51, -v43
	v_fmac_f32_e32 v43, 0xbf1a4643, v51
	v_fma_f32 v56, 0x3f3d2fb0, v51, -v47
	v_mul_f32_e32 v52, 0x3f2c7751, v52
	v_fmac_f32_e32 v47, 0x3f3d2fb0, v51
	v_add_f32_e32 v51, v28, v26
	v_mul_f32_e32 v59, 0xbf763a35, v57
	v_sub_f32_e32 v26, v26, v28
	v_fmamk_f32 v37, v53, 0x3dbcf732, v133
	v_fma_f32 v133, 0x3dbcf732, v53, -v133
	v_add_f32_e32 v72, v171, v157
	v_add_f32_e32 v61, v80, v61
	;; [unrolled: 1-line block ×11, first 2 shown]
	v_fmamk_f32 v58, v53, 0x3f3d2fb0, v52
	v_fma_f32 v28, 0x3f3d2fb0, v53, -v52
	v_add_f32_e32 v27, v29, v27
	v_fma_f32 v29, 0xbe8c1d8e, v51, -v59
	v_mul_f32_e32 v52, 0xbf763a35, v26
	v_add_f32_e32 v34, v67, v34
	v_fmamk_f32 v67, v53, 0xbf7ba420, v135
	v_fma_f32 v135, 0xbf7ba420, v53, -v135
	v_add_f32_e32 v39, v182, v154
	v_add_f32_e32 v6, v6, v72
	;; [unrolled: 1-line block ×10, first 2 shown]
	v_fmamk_f32 v28, v27, 0xbe8c1d8e, v52
	v_mul_f32_e32 v29, 0x3f06c442, v57
	v_fma_f32 v47, 0xbe8c1d8e, v27, -v52
	v_mul_f32_e32 v52, 0x3f06c442, v26
	v_fmamk_f32 v161, v53, 0xbe8c1d8e, v137
	v_fma_f32 v137, 0xbe8c1d8e, v53, -v137
	v_fmamk_f32 v162, v53, 0x3ee437d1, v143
	v_fma_f32 v143, 0x3ee437d1, v53, -v143
	v_add_f32_e32 v34, v83, v34
	v_add_f32_e32 v37, v67, v39
	;; [unrolled: 1-line block ×4, first 2 shown]
	v_fmamk_f32 v42, v53, 0xbf59a7d5, v145
	v_fma_f32 v44, 0xbf59a7d5, v53, -v145
	v_fmamk_f32 v55, v53, 0xbf1a4643, v45
	v_fma_f32 v45, 0xbf1a4643, v53, -v45
	v_add_f32_e32 v53, v58, v75
	v_add_f32_e32 v28, v28, v36
	v_fma_f32 v36, 0xbf59a7d5, v51, -v29
	v_add_f32_e32 v35, v47, v35
	v_fmamk_f32 v47, v27, 0xbf59a7d5, v52
	v_mul_f32_e32 v58, 0x3f2c7751, v57
	v_fmac_f32_e32 v29, 0xbf59a7d5, v51
	v_add_f32_e32 v54, v183, v155
	v_add_f32_e32 v24, v85, v24
	;; [unrolled: 1-line block ×4, first 2 shown]
	v_fmac_f32_e32 v59, 0xbe8c1d8e, v51
	v_add_f32_e32 v15, v36, v15
	v_fma_f32 v36, 0xbf59a7d5, v27, -v52
	v_add_f32_e32 v37, v47, v37
	v_fma_f32 v47, 0x3f3d2fb0, v51, -v58
	v_mul_f32_e32 v52, 0x3f2c7751, v26
	v_add_f32_e32 v29, v29, v38
	v_mul_f32_e32 v38, 0xbf65296c, v57
	v_add_f32_e32 v30, v161, v54
	v_add_f32_e32 v24, v136, v24
	;; [unrolled: 1-line block ×6, first 2 shown]
	v_fmamk_f32 v41, v27, 0x3f3d2fb0, v52
	v_fmac_f32_e32 v58, 0x3f3d2fb0, v51
	v_fma_f32 v47, 0x3f3d2fb0, v27, -v52
	v_fma_f32 v52, 0x3ee437d1, v51, -v38
	v_mul_f32_e32 v59, 0xbf65296c, v26
	v_add_f32_e32 v60, v73, v60
	v_add_f32_e32 v73, v165, v149
	;; [unrolled: 1-line block ×6, first 2 shown]
	v_fmamk_f32 v41, v27, 0x3ee437d1, v59
	v_mul_f32_e32 v47, 0xbe3c28d5, v57
	v_fmac_f32_e32 v38, 0x3ee437d1, v51
	v_fma_f32 v52, 0x3ee437d1, v27, -v59
	v_mul_f32_e32 v58, 0xbe3c28d5, v26
	v_add_f32_e32 v78, v172, v158
	v_add_f32_e32 v63, v81, v63
	;; [unrolled: 1-line block ×7, first 2 shown]
	v_fma_f32 v41, 0xbf7ba420, v51, -v47
	v_add_f32_e32 v31, v38, v31
	v_add_f32_e32 v2, v52, v2
	v_fmamk_f32 v38, v27, 0xbf7ba420, v58
	v_mul_f32_e32 v52, 0x3f7ee86f, v57
	v_add_f32_e32 v79, v173, v159
	v_add_f32_e32 v71, v129, v78
	;; [unrolled: 1-line block ×9, first 2 shown]
	v_fmac_f32_e32 v47, 0xbf7ba420, v51
	v_fma_f32 v41, 0xbf7ba420, v27, -v58
	v_add_f32_e32 v6, v38, v6
	v_fma_f32 v38, 0x3dbcf732, v51, -v52
	v_mul_f32_e32 v58, 0x3f7ee86f, v26
	v_add_f32_e32 v65, v82, v65
	v_add_f32_e32 v73, v185, v79
	;; [unrolled: 1-line block ×8, first 2 shown]
	v_fmamk_f32 v38, v27, 0x3dbcf732, v58
	v_fmac_f32_e32 v52, 0x3dbcf732, v51
	v_fma_f32 v47, 0x3dbcf732, v27, -v58
	v_mul_f32_e32 v59, 0xbeb8f4ab, v26
	v_add_f32_e32 v64, v89, v64
	v_add_f32_e32 v65, v131, v65
	;; [unrolled: 1-line block ×4, first 2 shown]
	v_mul_f32_e32 v41, 0xbeb8f4ab, v57
	v_add_f32_e32 v38, v38, v42
	v_add_f32_e32 v42, v52, v54
	v_add_f32_e32 v44, v47, v44
	v_fmamk_f32 v47, v27, 0x3f6eb680, v59
	v_mul_f32_e32 v52, 0xbf4c4adb, v57
	v_add_f32_e32 v43, v43, v64
	v_add_f32_e32 v45, v45, v65
	;; [unrolled: 1-line block ×3, first 2 shown]
	v_fma_f32 v58, 0x3f6eb680, v51, -v41
	v_fmac_f32_e32 v41, 0x3f6eb680, v51
	v_fma_f32 v54, 0x3f6eb680, v27, -v59
	v_add_f32_e32 v47, v47, v55
	v_fma_f32 v55, 0xbf1a4643, v51, -v52
	v_mul_f32_e32 v26, 0xbf4c4adb, v26
	v_add_f32_e32 v41, v41, v43
	v_add_f32_e32 v43, v54, v45
	v_sub_f32_e32 v45, v17, v23
	v_add_f32_e32 v54, v55, v56
	v_add_f32_e32 v55, v22, v16
	v_sub_f32_e32 v16, v16, v22
	v_fmamk_f32 v57, v27, 0xbf1a4643, v26
	v_mul_f32_e32 v22, 0xbf4c4adb, v45
	v_fma_f32 v26, 0xbf1a4643, v27, -v26
	v_add_f32_e32 v17, v23, v17
	v_mul_f32_e32 v23, 0xbf4c4adb, v16
	v_fmac_f32_e32 v52, 0xbf1a4643, v51
	v_fma_f32 v27, 0xbf1a4643, v55, -v22
	v_add_f32_e32 v5, v26, v5
	v_mul_f32_e32 v26, 0x3f763a35, v45
	v_fmamk_f32 v51, v17, 0xbf1a4643, v23
	v_fmac_f32_e32 v22, 0xbf1a4643, v55
	v_add_f32_e32 v14, v27, v14
	v_fma_f32 v23, 0xbf1a4643, v17, -v23
	v_fma_f32 v27, 0xbe8c1d8e, v55, -v26
	v_add_f32_e32 v28, v51, v28
	v_mul_f32_e32 v51, 0x3f763a35, v16
	v_add_f32_e32 v22, v22, v34
	v_add_f32_e32 v23, v23, v35
	;; [unrolled: 1-line block ×3, first 2 shown]
	v_mul_f32_e32 v27, 0xbeb8f4ab, v45
	v_fmamk_f32 v34, v17, 0xbe8c1d8e, v51
	v_fmac_f32_e32 v26, 0xbe8c1d8e, v55
	v_fma_f32 v35, 0xbe8c1d8e, v17, -v51
	v_mul_f32_e32 v51, 0xbeb8f4ab, v16
	v_add_f32_e32 v4, v52, v4
	v_fma_f32 v52, 0x3f6eb680, v55, -v27
	v_add_f32_e32 v34, v34, v37
	v_add_f32_e32 v26, v26, v29
	v_add_f32_e32 v29, v35, v36
	v_fmamk_f32 v35, v17, 0x3f6eb680, v51
	v_mul_f32_e32 v37, 0xbf06c442, v45
	v_fmac_f32_e32 v27, 0x3f6eb680, v55
	v_add_f32_e32 v36, v52, v39
	v_fma_f32 v39, 0x3f6eb680, v17, -v51
	v_add_f32_e32 v30, v35, v30
	v_mul_f32_e32 v35, 0xbf06c442, v16
	v_fma_f32 v51, 0xbf59a7d5, v55, -v37
	v_add_f32_e32 v24, v27, v24
	v_mul_f32_e32 v27, 0x3f7ee86f, v45
	v_add_f32_e32 v25, v39, v25
	v_fmamk_f32 v39, v17, 0xbf59a7d5, v35
	v_add_f32_e32 v12, v51, v12
	v_fmac_f32_e32 v37, 0xbf59a7d5, v55
	v_fma_f32 v51, 0x3dbcf732, v55, -v27
	v_fma_f32 v35, 0xbf59a7d5, v17, -v35
	v_add_f32_e32 v13, v39, v13
	v_mul_f32_e32 v39, 0x3f7ee86f, v16
	v_fmac_f32_e32 v27, 0x3dbcf732, v55
	v_add_f32_e32 v3, v51, v3
	v_mul_f32_e32 v51, 0xbf2c7751, v16
	v_add_f32_e32 v31, v37, v31
	v_add_f32_e32 v2, v35, v2
	v_mul_f32_e32 v35, 0xbf2c7751, v45
	v_fmamk_f32 v37, v17, 0x3dbcf732, v39
	v_fma_f32 v39, 0x3dbcf732, v17, -v39
	v_add_f32_e32 v27, v27, v32
	v_fmamk_f32 v32, v17, 0x3f3d2fb0, v51
	v_add_f32_e32 v46, v46, v72
	v_fma_f32 v52, 0x3f3d2fb0, v55, -v35
	v_add_f32_e32 v6, v37, v6
	v_add_f32_e32 v7, v39, v7
	v_mul_f32_e32 v37, 0xbe3c28d5, v45
	v_fmac_f32_e32 v35, 0x3f3d2fb0, v55
	v_fma_f32 v39, 0x3f3d2fb0, v17, -v51
	v_add_f32_e32 v32, v32, v38
	v_mul_f32_e32 v38, 0xbe3c28d5, v16
	v_add_f32_e32 v46, v58, v46
	v_fma_f32 v51, 0xbf7ba420, v55, -v37
	v_add_f32_e32 v35, v35, v42
	v_add_f32_e32 v39, v39, v44
	v_mul_f32_e32 v42, 0x3f65296c, v45
	v_fmamk_f32 v44, v17, 0xbf7ba420, v38
	v_fma_f32 v38, 0xbf7ba420, v17, -v38
	v_add_f32_e32 v45, v51, v46
	v_fmac_f32_e32 v37, 0xbf7ba420, v55
	v_fma_f32 v46, 0x3ee437d1, v55, -v42
	v_add_f32_e32 v44, v44, v47
	v_mul_f32_e32 v16, 0x3f65296c, v16
	v_add_f32_e32 v38, v38, v43
	v_sub_f32_e32 v43, v19, v21
	v_sub_f32_e32 v47, v18, v20
	v_add_f32_e32 v53, v57, v53
	v_add_f32_e32 v37, v37, v41
	;; [unrolled: 1-line block ×3, first 2 shown]
	v_fmamk_f32 v46, v17, 0x3ee437d1, v16
	v_fmac_f32_e32 v42, 0x3ee437d1, v55
	v_add_f32_e32 v18, v20, v18
	v_mul_f32_e32 v20, 0xbf06c442, v43
	v_fma_f32 v16, 0x3ee437d1, v17, -v16
	v_add_f32_e32 v17, v21, v19
	v_mul_f32_e32 v19, 0xbf06c442, v47
	v_add_f32_e32 v21, v46, v53
	v_fma_f32 v46, 0xbf59a7d5, v18, -v20
	v_add_f32_e32 v4, v42, v4
	v_add_f32_e32 v5, v16, v5
	v_fmamk_f32 v16, v17, 0xbf59a7d5, v19
	v_mul_f32_e32 v42, 0x3f65296c, v43
	v_fmac_f32_e32 v20, 0xbf59a7d5, v18
	v_add_f32_e32 v14, v46, v14
	v_fma_f32 v19, 0xbf59a7d5, v17, -v19
	v_add_f32_e32 v16, v16, v28
	v_fma_f32 v28, 0x3ee437d1, v18, -v42
	v_mul_f32_e32 v46, 0x3f65296c, v47
	v_add_f32_e32 v20, v20, v22
	v_mul_f32_e32 v22, 0xbf7ee86f, v43
	v_add_f32_e32 v19, v19, v23
	v_add_f32_e32 v15, v28, v15
	v_fmamk_f32 v23, v17, 0x3ee437d1, v46
	v_fmac_f32_e32 v42, 0x3ee437d1, v18
	v_fma_f32 v28, 0x3ee437d1, v17, -v46
	v_fma_f32 v46, 0x3dbcf732, v18, -v22
	v_mul_f32_e32 v51, 0xbf7ee86f, v47
	v_add_f32_e32 v23, v23, v34
	v_add_f32_e32 v26, v42, v26
	;; [unrolled: 1-line block ×4, first 2 shown]
	v_fmamk_f32 v34, v17, 0x3dbcf732, v51
	v_mul_f32_e32 v36, 0x3f4c4adb, v43
	v_fmac_f32_e32 v22, 0x3dbcf732, v18
	v_fma_f32 v42, 0x3dbcf732, v17, -v51
	v_mul_f32_e32 v46, 0x3f4c4adb, v47
	v_add_f32_e32 v30, v34, v30
	v_fma_f32 v34, 0xbf1a4643, v18, -v36
	v_add_f32_e32 v22, v22, v24
	v_add_f32_e32 v24, v42, v25
	v_fmamk_f32 v25, v17, 0xbf1a4643, v46
	v_mul_f32_e32 v42, 0xbeb8f4ab, v43
	v_add_f32_e32 v12, v34, v12
	v_fma_f32 v34, 0xbf1a4643, v17, -v46
	v_mul_f32_e32 v46, 0xbeb8f4ab, v47
	v_add_f32_e32 v13, v25, v13
	v_fma_f32 v25, 0x3f6eb680, v18, -v42
	v_fmac_f32_e32 v36, 0xbf1a4643, v18
	v_mul_f32_e32 v51, 0xbe3c28d5, v47
	v_add_f32_e32 v33, v52, v33
	v_add_f32_e32 v2, v34, v2
	;; [unrolled: 1-line block ×3, first 2 shown]
	v_fmamk_f32 v3, v17, 0x3f6eb680, v46
	v_add_f32_e32 v31, v36, v31
	v_mul_f32_e32 v34, 0xbe3c28d5, v43
	v_fmac_f32_e32 v42, 0x3f6eb680, v18
	v_fma_f32 v36, 0x3f6eb680, v17, -v46
	v_add_f32_e32 v52, v3, v6
	v_fmamk_f32 v3, v17, 0xbf7ba420, v51
	v_mul_f32_e32 v6, 0x3f2c7751, v43
	v_fma_f32 v46, 0xbf7ba420, v18, -v34
	v_add_f32_e32 v27, v42, v27
	v_add_f32_e32 v36, v36, v7
	v_fmac_f32_e32 v34, 0xbf7ba420, v18
	v_mul_f32_e32 v7, 0x3f2c7751, v47
	v_fma_f32 v42, 0xbf7ba420, v17, -v51
	v_add_f32_e32 v32, v3, v32
	v_fma_f32 v3, 0x3f3d2fb0, v18, -v6
	v_add_f32_e32 v34, v34, v35
	v_fmamk_f32 v35, v17, 0x3f3d2fb0, v7
	v_add_f32_e32 v39, v42, v39
	v_mul_f32_e32 v42, 0xbf763a35, v43
	v_add_f32_e32 v43, v3, v45
	v_fmac_f32_e32 v6, 0x3f3d2fb0, v18
	v_sub_f32_e32 v45, v9, v11
	v_add_f32_e32 v33, v46, v33
	v_add_f32_e32 v35, v35, v44
	v_fma_f32 v3, 0x3f3d2fb0, v17, -v7
	v_fma_f32 v7, 0xbe8c1d8e, v18, -v42
	v_mul_f32_e32 v44, 0xbf763a35, v47
	v_add_f32_e32 v37, v6, v37
	v_add_f32_e32 v46, v10, v8
	v_mul_f32_e32 v6, 0xbe3c28d5, v45
	v_add_f32_e32 v38, v3, v38
	v_add_f32_e32 v41, v7, v41
	v_fmamk_f32 v3, v17, 0xbe8c1d8e, v44
	v_sub_f32_e32 v47, v8, v10
	v_fma_f32 v7, 0xbe8c1d8e, v17, -v44
	v_fma_f32 v8, 0xbf7ba420, v46, -v6
	v_fmac_f32_e32 v42, 0xbe8c1d8e, v18
	v_add_f32_e32 v44, v11, v9
	v_mul_f32_e32 v9, 0xbe3c28d5, v47
	v_add_f32_e32 v51, v3, v21
	v_add_f32_e32 v53, v7, v5
	;; [unrolled: 1-line block ×3, first 2 shown]
	v_mul_f32_e32 v7, 0x3eb8f4ab, v45
	v_fmac_f32_e32 v6, 0xbf7ba420, v46
	v_mul_f32_e32 v8, 0x3eb8f4ab, v47
	v_add_f32_e32 v42, v42, v4
	v_fmamk_f32 v4, v44, 0xbf7ba420, v9
	v_fma_f32 v5, 0xbf7ba420, v44, -v9
	v_fma_f32 v9, 0x3f6eb680, v46, -v7
	v_add_f32_e32 v62, v6, v20
	v_fmamk_f32 v6, v44, 0x3f6eb680, v8
	v_mul_f32_e32 v10, 0xbf06c442, v45
	v_fma_f32 v8, 0x3f6eb680, v44, -v8
	v_mul_f32_e32 v11, 0xbf06c442, v47
	v_mul_f32_e32 v14, 0x3f2c7751, v45
	v_add_f32_e32 v4, v4, v16
	v_add_f32_e32 v63, v5, v19
	;; [unrolled: 1-line block ×3, first 2 shown]
	v_fmac_f32_e32 v7, 0x3f6eb680, v46
	v_fma_f32 v9, 0xbf59a7d5, v46, -v10
	v_add_f32_e32 v61, v8, v28
	v_fmamk_f32 v8, v44, 0xbf59a7d5, v11
	v_fmac_f32_e32 v10, 0xbf59a7d5, v46
	v_fma_f32 v11, 0xbf59a7d5, v44, -v11
	v_fma_f32 v15, 0x3f3d2fb0, v46, -v14
	v_mul_f32_e32 v16, 0x3f2c7751, v47
	v_add_f32_e32 v60, v7, v26
	v_add_f32_e32 v7, v9, v29
	;; [unrolled: 1-line block ×5, first 2 shown]
	v_fmamk_f32 v12, v44, 0x3f3d2fb0, v16
	v_mul_f32_e32 v17, 0xbf4c4adb, v45
	v_fmac_f32_e32 v14, 0x3f3d2fb0, v46
	v_fma_f32 v15, 0x3f3d2fb0, v44, -v16
	v_mul_f32_e32 v16, 0xbf4c4adb, v47
	v_add_f32_e32 v12, v12, v13
	v_fma_f32 v18, 0xbf1a4643, v46, -v17
	v_add_f32_e32 v13, v14, v31
	v_add_f32_e32 v14, v15, v2
	v_fmamk_f32 v2, v44, 0xbf1a4643, v16
	v_mul_f32_e32 v21, 0x3f65296c, v45
	v_add_f32_e32 v15, v18, v25
	v_fma_f32 v18, 0xbf1a4643, v44, -v16
	v_mul_f32_e32 v20, 0x3f65296c, v47
	v_add_f32_e32 v16, v2, v52
	v_fma_f32 v2, 0x3ee437d1, v46, -v21
	v_mul_f32_e32 v24, 0xbf763a35, v47
	v_fmac_f32_e32 v17, 0xbf1a4643, v46
	v_fma_f32 v22, 0x3ee437d1, v44, -v20
	v_mul_f32_e32 v25, 0xbf763a35, v45
	v_add_f32_e32 v19, v2, v33
	v_fmamk_f32 v2, v44, 0x3ee437d1, v20
	v_add_f32_e32 v17, v17, v27
	v_mul_f32_e32 v29, 0x3f7ee86f, v45
	v_mul_f32_e32 v27, 0x3f7ee86f, v47
	v_fma_f32 v26, 0xbe8c1d8e, v44, -v24
	v_add_f32_e32 v20, v2, v32
	v_fmamk_f32 v2, v44, 0xbe8c1d8e, v24
	v_mul_lo_u16 v31, v66, 17
	v_add_f32_e32 v6, v6, v23
	v_fma_f32 v23, 0xbe8c1d8e, v46, -v25
	v_add_f32_e32 v8, v8, v30
	v_add_f32_e32 v24, v2, v35
	v_mov_b32_e32 v2, 3
	v_fma_f32 v28, 0x3dbcf732, v46, -v29
	v_fmamk_f32 v30, v44, 0x3dbcf732, v27
	v_fmac_f32_e32 v29, 0x3dbcf732, v46
	v_fma_f32 v32, 0x3dbcf732, v44, -v27
	v_fmac_f32_e32 v21, 0x3ee437d1, v46
	v_fmac_f32_e32 v25, 0xbe8c1d8e, v46
	v_lshlrev_b32_sdwa v143, v2, v31 dst_sel:DWORD dst_unused:UNUSED_PAD src0_sel:DWORD src1_sel:WORD_0
	v_add_f32_e32 v23, v23, v43
	v_add_f32_e32 v27, v28, v41
	;; [unrolled: 1-line block ×10, first 2 shown]
	ds_write2_b64 v143, v[0:1], v[3:4] offset1:1
	ds_write2_b64 v143, v[5:6], v[7:8] offset0:2 offset1:3
	ds_write2_b64 v143, v[11:12], v[15:16] offset0:4 offset1:5
	;; [unrolled: 1-line block ×7, first 2 shown]
	ds_write_b64 v143, v[62:63] offset:128
	v_add_nc_u32_e32 v0, 0x400, v139
	v_add_nc_u32_e32 v1, 0x1400, v139
	s_waitcnt lgkmcnt(0)
	s_barrier
	buffer_gl0_inv
	ds_read2_b64 v[36:39], v139 offset1:85
	ds_read2_b64 v[32:35], v0 offset0:42 offset1:161
	ds_read2_b64 v[44:47], v40 offset0:66 offset1:151
	;; [unrolled: 1-line block ×6, first 2 shown]
	ds_read_b64 v[64:65], v139 offset:10608
                                        ; implicit-def: $vgpr66
                                        ; implicit-def: $vgpr70
                                        ; implicit-def: $vgpr72
	s_and_saveexec_b32 s0, vcc_lo
	s_cbranch_execz .LBB0_3
; %bb.2:
	ds_read_b64 v[60:61], v139 offset:2040
	ds_read_b64 v[62:63], v139 offset:4352
	;; [unrolled: 1-line block ×5, first 2 shown]
.LBB0_3:
	s_or_b32 exec_lo, exec_lo, s0
	v_and_b32_e32 v0, 0xff, v140
	v_add_nc_u16 v1, v140, 0xff
	v_mov_b32_e32 v3, 0xf0f1
	v_add_nc_u16 v4, v140, 0x55
	v_add_nc_u16 v8, v140, 0xaa
	v_mul_lo_u16 v0, 0xf1, v0
	v_mov_b32_e32 v80, 0x55
	v_lshrrev_b16 v74, 12, v0
	v_mul_u32_u24_sdwa v0, v1, v3 dst_sel:DWORD dst_unused:UNUSED_PAD src0_sel:WORD_0 src1_sel:DWORD
	v_mul_lo_u16 v3, v74, 17
	v_lshrrev_b32_e32 v141, 20, v0
	v_mul_u32_u24_sdwa v74, v74, v80 dst_sel:DWORD dst_unused:UNUSED_PAD src0_sel:WORD_0 src1_sel:DWORD
	v_sub_nc_u16 v0, v140, v3
	v_and_b32_e32 v3, 0xff, v4
	v_mul_lo_u16 v5, v141, 17
	v_and_b32_e32 v75, 0xff, v0
	v_mul_lo_u16 v0, 0xf1, v3
	v_and_b32_e32 v3, 0xff, v8
	v_sub_nc_u16 v142, v1, v5
	v_lshlrev_b32_e32 v1, 5, v75
	v_lshrrev_b16 v76, 12, v0
	v_mul_lo_u16 v3, 0xf1, v3
	v_lshlrev_b16 v0, 2, v142
	v_add_lshl_u32 v146, v74, v75, 3
	s_clause 0x1
	global_load_dwordx4 v[28:31], v1, s[2:3]
	global_load_dwordx4 v[24:27], v1, s[2:3] offset:16
	v_lshrrev_b16 v77, 12, v3
	v_mul_lo_u16 v5, v76, 17
	v_lshlrev_b32_sdwa v6, v2, v0 dst_sel:DWORD dst_unused:UNUSED_PAD src0_sel:DWORD src1_sel:WORD_0
	v_mul_u32_u24_sdwa v76, v76, v80 dst_sel:DWORD dst_unused:UNUSED_PAD src0_sel:WORD_0 src1_sel:DWORD
	v_mul_lo_u16 v10, v77, 17
	v_sub_nc_u16 v9, v4, v5
	global_load_dwordx4 v[0:3], v6, s[2:3]
	v_mul_u32_u24_sdwa v77, v77, v80 dst_sel:DWORD dst_unused:UNUSED_PAD src0_sel:WORD_0 src1_sel:DWORD
	v_sub_nc_u16 v8, v8, v10
	v_and_b32_e32 v78, 0xff, v9
	v_and_b32_e32 v79, 0xff, v8
	v_lshlrev_b32_e32 v9, 5, v78
	v_add_lshl_u32 v145, v76, v78, 3
	v_lshlrev_b32_e32 v8, 5, v79
	s_clause 0x4
	global_load_dwordx4 v[20:23], v9, s[2:3]
	global_load_dwordx4 v[4:7], v6, s[2:3] offset:16
	global_load_dwordx4 v[16:19], v9, s[2:3] offset:16
	global_load_dwordx4 v[12:15], v8, s[2:3]
	global_load_dwordx4 v[8:11], v8, s[2:3] offset:16
	v_add_lshl_u32 v144, v77, v79, 3
	s_waitcnt vmcnt(0) lgkmcnt(0)
	s_barrier
	buffer_gl0_inv
	v_mul_f32_e32 v78, v35, v29
	v_mul_f32_e32 v79, v34, v29
	;; [unrolled: 1-line block ×8, first 2 shown]
	v_fma_f32 v78, v34, v28, -v78
	v_mul_f32_e32 v86, v63, v1
	v_mul_f32_e32 v77, v62, v1
	;; [unrolled: 1-line block ×4, first 2 shown]
	v_fmac_f32_e32 v79, v35, v28
	v_fma_f32 v80, v44, v30, -v80
	v_fmac_f32_e32 v81, v45, v30
	v_fma_f32 v82, v42, v24, -v82
	;; [unrolled: 2-line block ×5, first 2 shown]
	v_mul_f32_e32 v44, v57, v21
	v_mul_f32_e32 v88, v71, v5
	;; [unrolled: 1-line block ×20, first 2 shown]
	v_fmac_f32_e32 v76, v67, v2
	v_fma_f32 v35, v70, v4, -v88
	v_fmac_f32_e32 v75, v71, v4
	v_fma_f32 v34, v72, v6, -v89
	;; [unrolled: 2-line block ×6, first 2 shown]
	v_fmac_f32_e32 v133, v55, v18
	v_fmac_f32_e32 v129, v59, v12
	v_fma_f32 v70, v50, v8, -v132
	v_fmac_f32_e32 v134, v51, v8
	v_add_f32_e32 v47, v36, v78
	v_add_f32_e32 v48, v80, v82
	v_sub_f32_e32 v49, v78, v80
	v_sub_f32_e32 v50, v84, v82
	v_add_f32_e32 v51, v78, v84
	v_sub_f32_e32 v53, v80, v78
	v_sub_f32_e32 v54, v82, v84
	v_add_f32_e32 v55, v37, v79
	v_add_f32_e32 v59, v81, v83
	v_sub_f32_e32 v62, v79, v81
	v_sub_f32_e32 v71, v85, v83
	v_add_f32_e32 v72, v79, v85
	v_fmac_f32_e32 v136, v65, v10
	v_sub_f32_e32 v65, v78, v84
	v_sub_f32_e32 v73, v81, v79
	;; [unrolled: 1-line block ×3, first 2 shown]
	v_fma_f32 v46, v58, v12, -v128
	v_fma_f32 v58, v40, v14, -v130
	v_fmac_f32_e32 v131, v41, v14
	v_fma_f32 v87, v64, v10, -v135
	v_sub_f32_e32 v63, v79, v85
	v_add_f32_e32 v79, v42, v35
	v_sub_f32_e32 v88, v43, v42
	v_sub_f32_e32 v89, v34, v35
	v_add_f32_e32 v127, v43, v34
	v_sub_f32_e32 v128, v42, v43
	v_sub_f32_e32 v130, v35, v34
	v_add_f32_e32 v132, v76, v75
	v_add_f32_e32 v138, v77, v74
	v_sub_f32_e32 v64, v81, v83
	v_sub_f32_e32 v67, v80, v82
	v_add_f32_e32 v80, v47, v80
	v_fma_f32 v48, -0.5, v48, v36
	v_add_f32_e32 v149, v49, v50
	v_fma_f32 v50, -0.5, v51, v36
	v_add_f32_e32 v150, v53, v54
	v_add_f32_e32 v53, v55, v81
	v_fma_f32 v49, -0.5, v59, v37
	v_add_f32_e32 v81, v62, v71
	v_fma_f32 v51, -0.5, v72, v37
	v_add_f32_e32 v59, v38, v56
	v_add_f32_e32 v62, v57, v66
	v_add_f32_e32 v158, v90, v91
	v_add_f32_e32 v78, v73, v78
	v_add_f32_e32 v73, v56, v86
	v_add_f32_e32 v163, v52, v133
	v_sub_f32_e32 v41, v77, v74
	v_sub_f32_e32 v44, v76, v75
	;; [unrolled: 1-line block ×10, first 2 shown]
	v_add_f32_e32 v157, v39, v52
	v_add_f32_e32 v166, v32, v46
	;; [unrolled: 1-line block ×3, first 2 shown]
	v_sub_f32_e32 v168, v129, v136
	v_sub_f32_e32 v170, v46, v58
	v_add_f32_e32 v172, v46, v87
	v_sub_f32_e32 v173, v58, v46
	v_add_f32_e32 v175, v33, v129
	v_add_f32_e32 v176, v131, v134
	v_sub_f32_e32 v177, v46, v87
	v_sub_f32_e32 v179, v129, v131
	v_add_f32_e32 v181, v129, v136
	v_sub_f32_e32 v129, v131, v129
	v_sub_f32_e32 v182, v134, v136
	v_fma_f32 v36, -0.5, v79, v60
	v_add_f32_e32 v47, v88, v89
	v_fma_f32 v127, -0.5, v127, v60
	v_add_f32_e32 v88, v128, v130
	v_fma_f32 v46, -0.5, v132, v61
	v_fma_f32 v128, -0.5, v138, v61
	v_sub_f32_e32 v153, v52, v133
	v_sub_f32_e32 v159, v56, v86
	;; [unrolled: 1-line block ×5, first 2 shown]
	v_add_f32_e32 v79, v80, v82
	v_fmamk_f32 v52, v63, 0x3f737871, v48
	v_fmac_f32_e32 v48, 0xbf737871, v63
	v_fmamk_f32 v55, v67, 0x3f737871, v51
	v_fmac_f32_e32 v51, 0xbf737871, v67
	v_add_f32_e32 v82, v59, v57
	v_fma_f32 v56, -0.5, v62, v38
	v_fma_f32 v57, -0.5, v158, v39
	v_sub_f32_e32 v154, v90, v91
	v_add_f32_e32 v80, v53, v83
	v_fmamk_f32 v53, v65, 0xbf737871, v49
	v_fmac_f32_e32 v49, 0x3f737871, v65
	v_fma_f32 v38, -0.5, v73, v38
	v_fmac_f32_e32 v39, -0.5, v163
	v_sub_f32_e32 v147, v76, v77
	v_sub_f32_e32 v148, v75, v74
	;; [unrolled: 1-line block ×4, first 2 shown]
	v_add_f32_e32 v37, v135, v137
	v_fmamk_f32 v54, v64, 0xbf737871, v50
	v_fmac_f32_e32 v50, 0x3f737871, v64
	v_add_f32_e32 v83, v71, v72
	v_add_f32_e32 v135, v155, v156
	;; [unrolled: 1-line block ×4, first 2 shown]
	v_fma_f32 v58, -0.5, v167, v32
	v_fma_f32 v32, -0.5, v172, v32
	v_add_f32_e32 v73, v175, v131
	v_fma_f32 v59, -0.5, v176, v33
	v_fmac_f32_e32 v33, -0.5, v181
	v_add_f32_e32 v155, v129, v182
	v_fmamk_f32 v129, v41, 0xbf737871, v36
	v_fmamk_f32 v131, v44, 0xbf737871, v127
	v_fmac_f32_e32 v127, 0x3f737871, v44
	v_fmamk_f32 v130, v45, 0x3f737871, v46
	v_fmamk_f32 v132, v40, 0x3f737871, v128
	v_fmac_f32_e32 v128, 0xbf737871, v40
	v_sub_f32_e32 v162, v133, v91
	v_fmac_f32_e32 v52, 0x3f167918, v64
	v_fmac_f32_e32 v48, 0xbf167918, v64
	;; [unrolled: 1-line block ×4, first 2 shown]
	v_fmamk_f32 v64, v153, 0x3f737871, v56
	v_fmamk_f32 v65, v159, 0xbf737871, v57
	v_sub_f32_e32 v165, v91, v133
	v_add_f32_e32 v62, v79, v84
	v_fmac_f32_e32 v53, 0xbf167918, v67
	v_fmac_f32_e32 v49, 0x3f167918, v67
	v_add_f32_e32 v79, v82, v66
	v_fmamk_f32 v66, v154, 0xbf737871, v38
	v_fmac_f32_e32 v38, 0x3f737871, v154
	v_fmamk_f32 v67, v160, 0x3f737871, v39
	v_fmac_f32_e32 v39, 0xbf737871, v160
	v_sub_f32_e32 v171, v87, v70
	v_sub_f32_e32 v174, v70, v87
	;; [unrolled: 1-line block ×3, first 2 shown]
	v_add_f32_e32 v89, v147, v148
	v_fmac_f32_e32 v54, 0x3f167918, v63
	v_fmac_f32_e32 v50, 0xbf167918, v63
	v_add_f32_e32 v63, v80, v85
	v_fmac_f32_e32 v56, 0xbf737871, v153
	v_add_f32_e32 v80, v71, v91
	;; [unrolled: 2-line block ×3, first 2 shown]
	v_fmamk_f32 v70, v168, 0x3f737871, v58
	v_fmac_f32_e32 v58, 0xbf737871, v168
	v_fmamk_f32 v72, v169, 0xbf737871, v32
	v_fmac_f32_e32 v32, 0x3f737871, v169
	v_add_f32_e32 v84, v73, v134
	v_fmamk_f32 v71, v177, 0xbf737871, v59
	v_fmac_f32_e32 v59, 0x3f737871, v177
	v_fmamk_f32 v73, v178, 0x3f737871, v33
	v_fmac_f32_e32 v33, 0xbf737871, v178
	v_fmac_f32_e32 v129, 0xbf167918, v44
	;; [unrolled: 1-line block ×7, first 2 shown]
	v_add_f32_e32 v90, v161, v162
	v_fmac_f32_e32 v64, 0x3f167918, v154
	v_fmac_f32_e32 v65, 0xbf167918, v160
	v_add_f32_e32 v137, v164, v165
	v_fmac_f32_e32 v66, 0x3f167918, v153
	v_fmac_f32_e32 v38, 0xbf167918, v153
	;; [unrolled: 1-line block ×4, first 2 shown]
	v_add_f32_e32 v138, v170, v171
	v_add_f32_e32 v147, v173, v174
	;; [unrolled: 1-line block ×3, first 2 shown]
	v_fmac_f32_e32 v52, 0x3e9e377a, v149
	v_fmac_f32_e32 v53, 0x3e9e377a, v81
	;; [unrolled: 1-line block ×24, first 2 shown]
	v_add_f32_e32 v78, v79, v86
	v_add_f32_e32 v79, v80, v133
	v_fmac_f32_e32 v64, 0x3e9e377a, v83
	v_fmac_f32_e32 v65, 0x3e9e377a, v90
	;; [unrolled: 1-line block ×6, first 2 shown]
	v_add_f32_e32 v80, v82, v87
	v_add_f32_e32 v81, v84, v136
	v_fmac_f32_e32 v56, 0x3e9e377a, v83
	v_fmac_f32_e32 v57, 0x3e9e377a, v90
	;; [unrolled: 1-line block ×10, first 2 shown]
	ds_write2_b64 v146, v[62:63], v[52:53] offset1:17
	ds_write2_b64 v146, v[54:55], v[50:51] offset0:34 offset1:51
	ds_write_b64 v146, v[48:49] offset:544
	ds_write2_b64 v145, v[78:79], v[64:65] offset1:17
	ds_write2_b64 v145, v[66:67], v[38:39] offset0:34 offset1:51
	ds_write_b64 v145, v[56:57] offset:544
	;; [unrolled: 3-line block ×3, first 2 shown]
	s_and_saveexec_b32 s0, vcc_lo
	s_cbranch_execz .LBB0_5
; %bb.4:
	v_mul_f32_e32 v32, 0x3f737871, v41
	v_mul_f32_e32 v38, 0x3f737871, v45
	v_add_f32_e32 v39, v61, v77
	v_add_f32_e32 v43, v60, v43
	v_mul_f32_e32 v33, 0x3f167918, v44
	v_mul_f32_e32 v40, 0x3f167918, v40
	v_sub_f32_e32 v38, v46, v38
	v_add_f32_e32 v39, v39, v76
	v_add_f32_e32 v32, v36, v32
	;; [unrolled: 1-line block ×3, first 2 shown]
	v_mul_f32_e32 v41, 0x3e9e377a, v47
	v_mul_f32_e32 v37, 0x3e9e377a, v37
	v_sub_f32_e32 v38, v38, v40
	v_add_f32_e32 v39, v39, v75
	v_add_f32_e32 v32, v33, v32
	;; [unrolled: 1-line block ×3, first 2 shown]
	v_mad_u16 v40, 0x55, v141, v142
	v_mov_b32_e32 v42, 3
	v_add_f32_e32 v33, v37, v38
	v_add_f32_e32 v35, v39, v74
	;; [unrolled: 1-line block ×4, first 2 shown]
	v_lshlrev_b32_sdwa v36, v42, v40 dst_sel:DWORD dst_unused:UNUSED_PAD src0_sel:DWORD src1_sel:WORD_0
	ds_write2_b64 v36, v[34:35], v[32:33] offset1:17
	ds_write2_b64 v36, v[131:132], v[127:128] offset0:34 offset1:51
	ds_write_b64 v36, v[129:130] offset:544
.LBB0_5:
	s_or_b32 exec_lo, exec_lo, s0
	v_add_nc_u32_e32 v147, 0x800, v139
	v_add_nc_u32_e32 v153, 0xc00, v139
	;; [unrolled: 1-line block ×6, first 2 shown]
	v_lshlrev_b32_e32 v60, 7, v140
	s_waitcnt lgkmcnt(0)
	s_barrier
	buffer_gl0_inv
	ds_read2_b64 v[64:67], v139 offset1:85
	ds_read2_b64 v[40:43], v139 offset0:170 offset1:255
	ds_read2_b64 v[48:51], v147 offset0:84 offset1:169
	;; [unrolled: 1-line block ×7, first 2 shown]
	ds_read_b64 v[171:172], v139 offset:10880
	s_clause 0x3
	global_load_dwordx4 v[32:35], v60, s[2:3] offset:592
	global_load_dwordx4 v[36:39], v60, s[2:3] offset:576
	;; [unrolled: 1-line block ×4, first 2 shown]
	s_waitcnt vmcnt(3) lgkmcnt(5)
	v_mul_f32_e32 v73, v54, v33
	s_waitcnt vmcnt(2)
	v_mul_f32_e32 v81, v50, v37
	s_waitcnt vmcnt(1)
	;; [unrolled: 2-line block ×3, first 2 shown]
	v_mul_f32_e32 v61, v67, v57
	v_mul_f32_e32 v134, v40, v59
	;; [unrolled: 1-line block ×4, first 2 shown]
	v_fmac_f32_e32 v89, v43, v44
	v_fma_f32 v173, v66, v56, -v61
	v_mul_f32_e32 v61, v41, v59
	v_fmac_f32_e32 v134, v41, v58
	v_fmac_f32_e32 v85, v49, v46
	;; [unrolled: 1-line block ×4, first 2 shown]
	v_fma_f32 v135, v40, v58, -v61
	v_mul_f32_e32 v40, v43, v45
	v_fmac_f32_e32 v73, v55, v32
	v_mul_f32_e32 v174, v66, v57
	s_waitcnt lgkmcnt(4)
	v_mul_f32_e32 v70, v155, v35
	v_fma_f32 v133, v42, v44, -v40
	v_mul_f32_e32 v40, v49, v47
	v_fmac_f32_e32 v174, v67, v56
	v_fmac_f32_e32 v70, v156, v34
	v_fma_f32 v88, v48, v46, -v40
	v_mul_f32_e32 v40, v51, v37
	v_add_f32_e32 v67, v65, v174
	v_fma_f32 v84, v50, v36, -v40
	v_mul_f32_e32 v40, v53, v39
	v_add_f32_e32 v67, v67, v134
	;; [unrolled: 3-line block ×4, first 2 shown]
	v_fma_f32 v72, v155, v34, -v40
	s_clause 0x3
	global_load_dwordx4 v[40:43], v60, s[2:3] offset:656
	global_load_dwordx4 v[48:51], v60, s[2:3] offset:640
	;; [unrolled: 1-line block ×4, first 2 shown]
	v_add_f32_e32 v67, v67, v81
	v_add_f32_e32 v67, v67, v77
	v_add_f32_e32 v67, v67, v73
	v_add_f32_e32 v67, v67, v70
	s_waitcnt vmcnt(3) lgkmcnt(1)
	v_mul_f32_e32 v137, v169, v41
	s_waitcnt vmcnt(2)
	v_mul_f32_e32 v87, v165, v49
	s_waitcnt vmcnt(1)
	;; [unrolled: 2-line block ×3, first 2 shown]
	v_mul_f32_e32 v66, v158, v61
	v_mul_f32_e32 v71, v157, v61
	;; [unrolled: 1-line block ×4, first 2 shown]
	v_fmac_f32_e32 v79, v162, v52
	v_fma_f32 v74, v157, v60, -v66
	v_mul_f32_e32 v66, v160, v63
	v_fmac_f32_e32 v71, v158, v60
	v_fmac_f32_e32 v75, v160, v62
	;; [unrolled: 1-line block ×4, first 2 shown]
	v_fma_f32 v78, v159, v62, -v66
	v_mul_f32_e32 v66, v162, v53
	v_add_f32_e32 v67, v67, v71
	v_mul_f32_e32 v91, v167, v51
	v_fmac_f32_e32 v137, v170, v40
	s_waitcnt lgkmcnt(0)
	v_mul_f32_e32 v156, v171, v43
	v_fma_f32 v82, v161, v52, -v66
	v_mul_f32_e32 v66, v164, v55
	v_add_f32_e32 v67, v67, v75
	v_fmac_f32_e32 v91, v168, v50
	v_fmac_f32_e32 v156, v172, v42
	v_fma_f32 v86, v163, v54, -v66
	v_mul_f32_e32 v66, v166, v49
	v_add_f32_e32 v67, v67, v79
	v_add_f32_e32 v158, v174, v156
	v_fma_f32 v90, v165, v48, -v66
	v_mul_f32_e32 v66, v168, v51
	v_add_f32_e32 v67, v67, v83
	v_fma_f32 v136, v167, v50, -v66
	v_mul_f32_e32 v66, v170, v41
	;; [unrolled: 3-line block ×3, first 2 shown]
	v_add_f32_e32 v67, v67, v91
	v_fma_f32 v155, v171, v42, -v66
	v_add_f32_e32 v66, v64, v173
	v_add_f32_e32 v67, v67, v137
	;; [unrolled: 1-line block ×5, first 2 shown]
	v_sub_f32_e32 v156, v174, v156
	v_add_f32_e32 v66, v66, v133
	v_mul_f32_e32 v159, 0xbeb8f4ab, v156
	v_mul_f32_e32 v163, 0xbf2c7751, v156
	;; [unrolled: 1-line block ×3, first 2 shown]
	v_add_f32_e32 v66, v66, v88
	v_mul_f32_e32 v171, 0xbf7ee86f, v156
	v_mul_f32_e32 v175, 0xbf763a35, v156
	;; [unrolled: 1-line block ×4, first 2 shown]
	v_add_f32_e32 v66, v66, v84
	v_mul_f32_e32 v156, 0xbe3c28d5, v156
	v_fma_f32 v160, 0x3f6eb680, v157, -v159
	v_fmac_f32_e32 v159, 0x3f6eb680, v157
	v_fma_f32 v164, 0x3f3d2fb0, v157, -v163
	v_add_f32_e32 v66, v66, v80
	v_fmac_f32_e32 v163, 0x3f3d2fb0, v157
	v_fma_f32 v168, 0x3ee437d1, v157, -v167
	v_fmac_f32_e32 v167, 0x3ee437d1, v157
	v_fma_f32 v172, 0x3dbcf732, v157, -v171
	v_add_f32_e32 v66, v66, v76
	v_fmac_f32_e32 v171, 0x3dbcf732, v157
	;; [unrolled: 5-line block ×4, first 2 shown]
	v_add_f32_e32 v160, v64, v160
	v_add_f32_e32 v159, v64, v159
	;; [unrolled: 1-line block ×21, first 2 shown]
	v_sub_f32_e32 v134, v134, v137
	v_add_f32_e32 v66, v66, v136
	v_mul_f32_e32 v137, 0xbf2c7751, v134
	v_add_f32_e32 v66, v66, v138
	v_add_f32_e32 v66, v66, v155
	v_sub_f32_e32 v155, v173, v155
	v_mul_f32_e32 v161, 0xbeb8f4ab, v155
	v_mul_f32_e32 v165, 0xbf2c7751, v155
	;; [unrolled: 1-line block ×8, first 2 shown]
	v_fmamk_f32 v162, v158, 0x3f6eb680, v161
	v_fma_f32 v161, 0x3f6eb680, v158, -v161
	v_fmamk_f32 v166, v158, 0x3f3d2fb0, v165
	v_fma_f32 v165, 0x3f3d2fb0, v158, -v165
	;; [unrolled: 2-line block ×8, first 2 shown]
	v_add_f32_e32 v162, v65, v162
	v_add_f32_e32 v161, v65, v161
	;; [unrolled: 1-line block ×17, first 2 shown]
	v_sub_f32_e32 v135, v135, v138
	v_fma_f32 v138, 0x3f3d2fb0, v155, -v137
	v_fmac_f32_e32 v137, 0x3f3d2fb0, v155
	v_mul_f32_e32 v157, 0xbf2c7751, v135
	v_add_f32_e32 v138, v138, v160
	v_add_f32_e32 v137, v137, v159
	v_mul_f32_e32 v159, 0xbf7ee86f, v134
	v_fmamk_f32 v158, v156, 0x3f3d2fb0, v157
	v_fma_f32 v157, 0x3f3d2fb0, v156, -v157
	v_fma_f32 v160, 0x3dbcf732, v155, -v159
	v_fmac_f32_e32 v159, 0x3dbcf732, v155
	v_add_f32_e32 v157, v157, v161
	v_mul_f32_e32 v161, 0xbf7ee86f, v135
	v_add_f32_e32 v158, v158, v162
	v_add_f32_e32 v160, v160, v164
	v_add_f32_e32 v159, v159, v163
	v_mul_f32_e32 v163, 0xbf4c4adb, v134
	v_fmamk_f32 v162, v156, 0x3dbcf732, v161
	v_fma_f32 v161, 0x3dbcf732, v156, -v161
	v_fma_f32 v164, 0xbf1a4643, v155, -v163
	v_fmac_f32_e32 v163, 0xbf1a4643, v155
	v_add_f32_e32 v161, v161, v165
	v_mul_f32_e32 v165, 0xbf4c4adb, v135
	v_add_f32_e32 v162, v162, v166
	v_add_f32_e32 v164, v164, v168
	v_add_f32_e32 v163, v163, v167
	v_mul_f32_e32 v167, 0xbe3c28d5, v134
	v_fmamk_f32 v166, v156, 0xbf1a4643, v165
	v_fma_f32 v165, 0xbf1a4643, v156, -v165
	v_fma_f32 v168, 0xbf7ba420, v155, -v167
	v_fmac_f32_e32 v167, 0xbf7ba420, v155
	v_add_f32_e32 v165, v165, v169
	v_mul_f32_e32 v169, 0xbe3c28d5, v135
	v_add_f32_e32 v166, v166, v170
	v_add_f32_e32 v168, v168, v172
	v_add_f32_e32 v167, v167, v171
	v_mul_f32_e32 v171, 0x3f06c442, v134
	v_fmamk_f32 v170, v156, 0xbf7ba420, v169
	v_fma_f32 v169, 0xbf7ba420, v156, -v169
	v_fma_f32 v172, 0xbf59a7d5, v155, -v171
	v_fmac_f32_e32 v171, 0xbf59a7d5, v155
	v_add_f32_e32 v169, v169, v173
	v_mul_f32_e32 v173, 0x3f06c442, v135
	v_add_f32_e32 v170, v170, v174
	v_add_f32_e32 v172, v172, v176
	v_add_f32_e32 v171, v171, v175
	v_mul_f32_e32 v175, 0x3f763a35, v134
	v_fmamk_f32 v174, v156, 0xbf59a7d5, v173
	v_fma_f32 v173, 0xbf59a7d5, v156, -v173
	v_fma_f32 v176, 0xbe8c1d8e, v155, -v175
	v_fmac_f32_e32 v175, 0xbe8c1d8e, v155
	v_add_f32_e32 v173, v173, v177
	v_mul_f32_e32 v177, 0x3f763a35, v135
	v_add_f32_e32 v174, v174, v178
	v_add_f32_e32 v176, v176, v180
	v_add_f32_e32 v175, v175, v179
	v_mul_f32_e32 v179, 0x3f65296c, v134
	v_fmamk_f32 v178, v156, 0xbe8c1d8e, v177
	v_fma_f32 v177, 0xbe8c1d8e, v156, -v177
	v_mul_f32_e32 v134, 0x3eb8f4ab, v134
	v_fma_f32 v180, 0x3ee437d1, v155, -v179
	v_fmac_f32_e32 v179, 0x3ee437d1, v155
	v_add_f32_e32 v177, v177, v181
	v_mul_f32_e32 v181, 0x3f65296c, v135
	v_mul_f32_e32 v135, 0x3eb8f4ab, v135
	v_add_f32_e32 v180, v180, v184
	v_add_f32_e32 v179, v179, v183
	v_fma_f32 v183, 0x3f6eb680, v155, -v134
	v_fmac_f32_e32 v134, 0x3f6eb680, v155
	v_fmamk_f32 v184, v156, 0x3f6eb680, v135
	v_add_f32_e32 v178, v178, v182
	v_fmamk_f32 v182, v156, 0x3ee437d1, v181
	v_fma_f32 v181, 0x3ee437d1, v156, -v181
	v_add_f32_e32 v64, v134, v64
	v_fma_f32 v134, 0x3f6eb680, v156, -v135
	v_add_f32_e32 v135, v89, v91
	v_sub_f32_e32 v89, v89, v91
	v_add_f32_e32 v181, v181, v185
	v_add_f32_e32 v183, v183, v187
	;; [unrolled: 1-line block ×4, first 2 shown]
	v_mul_f32_e32 v91, 0xbf65296c, v89
	v_sub_f32_e32 v133, v133, v136
	v_add_f32_e32 v182, v182, v186
	v_add_f32_e32 v184, v184, v188
	v_sub_f32_e32 v187, v85, v87
	v_fma_f32 v136, 0x3ee437d1, v134, -v91
	v_fmac_f32_e32 v91, 0x3ee437d1, v134
	v_sub_f32_e32 v186, v88, v90
	v_add_f32_e32 v185, v85, v87
	v_add_f32_e32 v136, v136, v138
	v_mul_f32_e32 v138, 0xbf65296c, v133
	v_add_f32_e32 v91, v91, v137
	v_mul_f32_e32 v85, 0xbf7ee86f, v186
	v_fma_f32 v137, 0x3ee437d1, v135, -v138
	v_fmamk_f32 v155, v135, 0x3ee437d1, v138
	v_mul_f32_e32 v138, 0xbf4c4adb, v89
	v_add_f32_e32 v137, v137, v157
	v_mul_f32_e32 v157, 0xbf4c4adb, v133
	v_add_f32_e32 v155, v155, v158
	v_fma_f32 v156, 0xbf1a4643, v134, -v138
	v_fmac_f32_e32 v138, 0xbf1a4643, v134
	v_fmamk_f32 v158, v135, 0xbf1a4643, v157
	v_fma_f32 v157, 0xbf1a4643, v135, -v157
	v_add_f32_e32 v156, v156, v160
	v_add_f32_e32 v138, v138, v159
	v_mul_f32_e32 v159, 0x3e3c28d5, v89
	v_add_f32_e32 v158, v158, v162
	v_add_f32_e32 v157, v157, v161
	v_mul_f32_e32 v161, 0x3e3c28d5, v133
	v_fma_f32 v160, 0xbf7ba420, v134, -v159
	v_fmac_f32_e32 v159, 0xbf7ba420, v134
	v_fmamk_f32 v162, v135, 0xbf7ba420, v161
	v_fma_f32 v161, 0xbf7ba420, v135, -v161
	v_add_f32_e32 v160, v160, v164
	v_add_f32_e32 v159, v159, v163
	v_mul_f32_e32 v163, 0x3f763a35, v89
	v_add_f32_e32 v162, v162, v166
	v_add_f32_e32 v161, v161, v165
	v_mul_f32_e32 v165, 0x3f763a35, v133
	;; [unrolled: 10-line block ×4, first 2 shown]
	v_fma_f32 v172, 0x3f6eb680, v134, -v171
	v_fmac_f32_e32 v171, 0x3f6eb680, v134
	v_fmamk_f32 v174, v135, 0x3f6eb680, v173
	v_fma_f32 v173, 0x3f6eb680, v135, -v173
	v_add_f32_e32 v172, v172, v176
	v_add_f32_e32 v171, v171, v175
	;; [unrolled: 1-line block ×3, first 2 shown]
	v_mul_f32_e32 v174, 0xbf7ee86f, v89
	v_add_f32_e32 v173, v173, v177
	v_mul_f32_e32 v177, 0xbf7ee86f, v133
	v_mul_f32_e32 v89, 0xbf06c442, v89
	;; [unrolled: 1-line block ×3, first 2 shown]
	v_fma_f32 v175, 0x3dbcf732, v134, -v174
	v_fmac_f32_e32 v174, 0x3dbcf732, v134
	v_fmamk_f32 v178, v135, 0x3dbcf732, v177
	v_add_f32_e32 v175, v175, v180
	v_add_f32_e32 v179, v174, v179
	v_fma_f32 v174, 0x3dbcf732, v135, -v177
	v_add_f32_e32 v178, v178, v182
	v_add_f32_e32 v177, v174, v181
	v_fma_f32 v174, 0xbf59a7d5, v134, -v89
	v_fmac_f32_e32 v89, 0xbf59a7d5, v134
	v_mul_f32_e32 v134, 0x3f763a35, v187
	v_add_f32_e32 v180, v174, v183
	v_fmamk_f32 v174, v135, 0xbf59a7d5, v133
	v_add_f32_e32 v182, v89, v64
	v_fma_f32 v64, 0xbf59a7d5, v135, -v133
	v_mul_f32_e32 v89, 0xbe3c28d5, v187
	v_mul_f32_e32 v135, 0x3f763a35, v186
	v_add_f32_e32 v181, v174, v184
	v_add_f32_e32 v184, v88, v90
	;; [unrolled: 1-line block ×3, first 2 shown]
	v_mul_f32_e32 v65, 0xbf7ee86f, v187
	v_fmamk_f32 v133, v185, 0xbe8c1d8e, v135
	v_fma_f32 v135, 0xbe8c1d8e, v185, -v135
	v_fma_f32 v87, 0xbf7ba420, v184, -v89
	v_fmac_f32_e32 v89, 0xbf7ba420, v184
	v_fma_f32 v64, 0x3dbcf732, v184, -v65
	v_fmac_f32_e32 v65, 0x3dbcf732, v184
	v_add_f32_e32 v133, v133, v162
	v_mul_f32_e32 v162, 0xbf06c442, v187
	v_add_f32_e32 v89, v89, v138
	v_mul_f32_e32 v138, 0x3eb8f4ab, v187
	v_add_f32_e32 v174, v64, v136
	v_add_f32_e32 v65, v65, v91
	v_fma_f32 v91, 0xbe8c1d8e, v184, -v134
	v_add_f32_e32 v135, v135, v161
	v_fma_f32 v136, 0x3f6eb680, v184, -v138
	v_fmac_f32_e32 v138, 0x3f6eb680, v184
	v_fmamk_f32 v64, v185, 0x3dbcf732, v85
	v_add_f32_e32 v91, v91, v160
	v_fma_f32 v160, 0xbf59a7d5, v184, -v162
	v_fma_f32 v85, 0x3dbcf732, v185, -v85
	v_add_f32_e32 v138, v138, v163
	v_mul_f32_e32 v163, 0xbf06c442, v186
	v_add_f32_e32 v64, v64, v155
	v_add_f32_e32 v160, v160, v172
	;; [unrolled: 1-line block ×3, first 2 shown]
	v_sub_f32_e32 v81, v81, v83
	v_fmamk_f32 v161, v185, 0xbf59a7d5, v163
	v_fma_f32 v163, 0xbf59a7d5, v185, -v163
	v_mul_f32_e32 v155, 0x3eb8f4ab, v186
	v_add_f32_e32 v85, v85, v137
	v_mul_f32_e32 v83, 0xbf763a35, v81
	v_add_f32_e32 v136, v136, v164
	v_add_f32_e32 v163, v163, v173
	;; [unrolled: 1-line block ×3, first 2 shown]
	v_sub_f32_e32 v84, v84, v86
	v_fmamk_f32 v137, v185, 0x3f6eb680, v155
	v_add_f32_e32 v87, v87, v156
	v_mul_f32_e32 v90, 0xbe3c28d5, v186
	v_fma_f32 v86, 0xbe8c1d8e, v173, -v83
	v_fmac_f32_e32 v83, 0xbe8c1d8e, v173
	v_add_f32_e32 v137, v137, v166
	v_mul_f32_e32 v166, 0x3f4c4adb, v187
	v_fmamk_f32 v88, v185, 0xbf7ba420, v90
	v_add_f32_e32 v86, v86, v174
	v_mul_f32_e32 v174, 0xbf763a35, v84
	v_add_f32_e32 v65, v83, v65
	v_fma_f32 v164, 0xbf1a4643, v184, -v166
	v_fma_f32 v90, 0xbf7ba420, v185, -v90
	v_fmac_f32_e32 v134, 0xbe8c1d8e, v184
	v_fma_f32 v83, 0xbe8c1d8e, v172, -v174
	v_add_f32_e32 v88, v88, v158
	v_add_f32_e32 v164, v164, v175
	v_fmamk_f32 v175, v172, 0xbe8c1d8e, v174
	v_add_f32_e32 v90, v90, v157
	v_add_f32_e32 v83, v83, v85
	v_mul_f32_e32 v85, 0x3f06c442, v81
	v_add_f32_e32 v134, v134, v159
	v_add_f32_e32 v64, v175, v64
	v_fma_f32 v155, 0x3f6eb680, v185, -v155
	v_mul_f32_e32 v158, 0xbf65296c, v187
	v_fma_f32 v174, 0xbf59a7d5, v173, -v85
	v_fmac_f32_e32 v85, 0xbf59a7d5, v173
	v_mul_f32_e32 v159, 0xbf65296c, v186
	v_add_f32_e32 v155, v155, v165
	v_fma_f32 v156, 0x3ee437d1, v184, -v158
	v_add_f32_e32 v87, v174, v87
	v_mul_f32_e32 v174, 0x3f06c442, v84
	v_add_f32_e32 v85, v85, v89
	v_fmac_f32_e32 v158, 0x3ee437d1, v184
	v_add_f32_e32 v156, v156, v168
	v_fmamk_f32 v157, v185, 0x3ee437d1, v159
	v_fma_f32 v89, 0xbf59a7d5, v172, -v174
	v_fmamk_f32 v175, v172, 0xbf59a7d5, v174
	v_add_f32_e32 v158, v158, v167
	v_fma_f32 v159, 0x3ee437d1, v185, -v159
	v_fmac_f32_e32 v162, 0xbf59a7d5, v184
	v_add_f32_e32 v89, v89, v90
	v_mul_f32_e32 v90, 0x3f2c7751, v81
	v_add_f32_e32 v88, v175, v88
	v_add_f32_e32 v159, v159, v169
	;; [unrolled: 1-line block ×4, first 2 shown]
	v_fma_f32 v174, 0x3f3d2fb0, v173, -v90
	v_fmac_f32_e32 v90, 0x3f3d2fb0, v173
	v_mul_f32_e32 v167, 0x3f4c4adb, v186
	v_fmac_f32_e32 v166, 0xbf1a4643, v184
	v_mul_f32_e32 v170, 0x3f2c7751, v187
	v_add_f32_e32 v91, v174, v91
	v_mul_f32_e32 v174, 0x3f2c7751, v84
	v_add_f32_e32 v90, v90, v134
	v_fmamk_f32 v165, v185, 0xbf1a4643, v167
	v_add_f32_e32 v166, v166, v179
	v_fma_f32 v167, 0xbf1a4643, v185, -v167
	v_fma_f32 v134, 0x3f3d2fb0, v172, -v174
	v_fmamk_f32 v175, v172, 0x3f3d2fb0, v174
	v_fma_f32 v168, 0x3f3d2fb0, v184, -v170
	v_mul_f32_e32 v171, 0x3f2c7751, v186
	v_add_f32_e32 v167, v167, v177
	v_add_f32_e32 v134, v134, v135
	v_mul_f32_e32 v135, 0xbf65296c, v81
	v_add_f32_e32 v133, v175, v133
	v_fmac_f32_e32 v170, 0x3f3d2fb0, v184
	v_add_f32_e32 v168, v168, v180
	v_fmamk_f32 v169, v185, 0x3f3d2fb0, v171
	v_fma_f32 v174, 0x3ee437d1, v173, -v135
	v_fmac_f32_e32 v135, 0x3ee437d1, v173
	v_add_f32_e32 v170, v170, v182
	v_fma_f32 v171, 0x3f3d2fb0, v185, -v171
	v_add_f32_e32 v169, v169, v181
	v_add_f32_e32 v136, v174, v136
	v_mul_f32_e32 v174, 0xbf65296c, v84
	v_add_f32_e32 v135, v135, v138
	v_add_f32_e32 v171, v171, v183
	;; [unrolled: 1-line block ×4, first 2 shown]
	v_fma_f32 v138, 0x3ee437d1, v172, -v174
	v_fmamk_f32 v175, v172, 0x3ee437d1, v174
	v_sub_f32_e32 v176, v70, v71
	v_add_f32_e32 v138, v138, v155
	v_mul_f32_e32 v155, 0xbe3c28d5, v81
	v_add_f32_e32 v137, v175, v137
	v_fma_f32 v174, 0xbf7ba420, v173, -v155
	v_fmac_f32_e32 v155, 0xbf7ba420, v173
	v_add_f32_e32 v156, v174, v156
	v_mul_f32_e32 v174, 0xbe3c28d5, v84
	v_add_f32_e32 v155, v155, v158
	v_fma_f32 v158, 0xbf7ba420, v172, -v174
	v_fmamk_f32 v175, v172, 0xbf7ba420, v174
	v_add_f32_e32 v158, v158, v159
	v_mul_f32_e32 v159, 0x3f7ee86f, v81
	v_add_f32_e32 v157, v175, v157
	v_fma_f32 v174, 0x3dbcf732, v173, -v159
	v_fmac_f32_e32 v159, 0x3dbcf732, v173
	v_add_f32_e32 v160, v174, v160
	v_mul_f32_e32 v174, 0x3f7ee86f, v84
	v_add_f32_e32 v159, v159, v162
	v_fma_f32 v162, 0x3dbcf732, v172, -v174
	v_fmamk_f32 v175, v172, 0x3dbcf732, v174
	v_add_f32_e32 v162, v162, v163
	v_mul_f32_e32 v163, 0xbeb8f4ab, v81
	v_mul_f32_e32 v81, 0xbf4c4adb, v81
	v_add_f32_e32 v161, v175, v161
	v_fma_f32 v174, 0x3f6eb680, v173, -v163
	v_fmac_f32_e32 v163, 0x3f6eb680, v173
	v_add_f32_e32 v164, v174, v164
	v_mul_f32_e32 v174, 0xbeb8f4ab, v84
	v_add_f32_e32 v163, v163, v166
	v_mul_f32_e32 v84, 0xbf4c4adb, v84
	v_fma_f32 v166, 0x3f6eb680, v172, -v174
	v_fmamk_f32 v175, v172, 0x3f6eb680, v174
	v_add_f32_e32 v174, v70, v71
	v_mul_f32_e32 v70, 0xbe3c28d5, v176
	v_add_f32_e32 v166, v166, v167
	v_fma_f32 v167, 0xbf1a4643, v173, -v81
	v_fmac_f32_e32 v81, 0xbf1a4643, v173
	v_add_f32_e32 v165, v175, v165
	v_sub_f32_e32 v175, v72, v74
	v_add_f32_e32 v167, v167, v168
	v_fmamk_f32 v168, v172, 0xbf1a4643, v84
	v_add_f32_e32 v81, v81, v170
	v_add_f32_e32 v170, v77, v79
	v_sub_f32_e32 v77, v77, v79
	v_fma_f32 v84, 0xbf1a4643, v172, -v84
	v_add_f32_e32 v168, v168, v169
	v_add_f32_e32 v169, v80, v82
	v_sub_f32_e32 v80, v80, v82
	v_mul_f32_e32 v79, 0xbf4c4adb, v77
	v_add_f32_e32 v84, v84, v171
	v_fma_f32 v82, 0xbf1a4643, v169, -v79
	v_fmac_f32_e32 v79, 0xbf1a4643, v169
	v_add_f32_e32 v82, v82, v86
	v_mul_f32_e32 v86, 0xbf4c4adb, v80
	v_add_f32_e32 v65, v79, v65
	v_fma_f32 v79, 0xbf1a4643, v170, -v86
	v_fmamk_f32 v171, v170, 0xbf1a4643, v86
	v_add_f32_e32 v79, v79, v83
	v_mul_f32_e32 v83, 0x3f763a35, v77
	v_add_f32_e32 v64, v171, v64
	v_fma_f32 v86, 0xbe8c1d8e, v169, -v83
	v_fmac_f32_e32 v83, 0xbe8c1d8e, v169
	v_add_f32_e32 v86, v86, v87
	v_mul_f32_e32 v87, 0x3f763a35, v80
	v_add_f32_e32 v83, v83, v85
	v_fmamk_f32 v171, v170, 0xbe8c1d8e, v87
	v_fma_f32 v85, 0xbe8c1d8e, v170, -v87
	v_mul_f32_e32 v87, 0xbeb8f4ab, v77
	v_add_f32_e32 v88, v171, v88
	v_add_f32_e32 v85, v85, v89
	v_fma_f32 v89, 0x3f6eb680, v169, -v87
	v_fmac_f32_e32 v87, 0x3f6eb680, v169
	v_add_f32_e32 v89, v89, v91
	v_mul_f32_e32 v91, 0xbeb8f4ab, v80
	v_add_f32_e32 v87, v87, v90
	v_fmamk_f32 v171, v170, 0x3f6eb680, v91
	v_fma_f32 v90, 0x3f6eb680, v170, -v91
	v_mul_f32_e32 v91, 0xbf06c442, v77
	v_add_f32_e32 v133, v171, v133
	v_add_f32_e32 v90, v90, v134
	v_fma_f32 v134, 0xbf59a7d5, v169, -v91
	v_fmac_f32_e32 v91, 0xbf59a7d5, v169
	v_add_f32_e32 v134, v134, v136
	v_mul_f32_e32 v136, 0xbf06c442, v80
	v_add_f32_e32 v91, v91, v135
	v_fmamk_f32 v171, v170, 0xbf59a7d5, v136
	v_fma_f32 v135, 0xbf59a7d5, v170, -v136
	v_mul_f32_e32 v136, 0x3f7ee86f, v77
	v_add_f32_e32 v137, v171, v137
	v_add_f32_e32 v135, v135, v138
	v_fma_f32 v138, 0x3dbcf732, v169, -v136
	v_fmac_f32_e32 v136, 0x3dbcf732, v169
	v_add_f32_e32 v138, v138, v156
	v_mul_f32_e32 v156, 0x3f7ee86f, v80
	v_add_f32_e32 v136, v136, v155
	v_fmamk_f32 v171, v170, 0x3dbcf732, v156
	v_fma_f32 v155, 0x3dbcf732, v170, -v156
	v_mul_f32_e32 v156, 0xbf2c7751, v77
	v_add_f32_e32 v157, v171, v157
	v_add_f32_e32 v155, v155, v158
	v_fma_f32 v158, 0x3f3d2fb0, v169, -v156
	v_fmac_f32_e32 v156, 0x3f3d2fb0, v169
	v_add_f32_e32 v158, v158, v160
	v_mul_f32_e32 v160, 0xbf2c7751, v80
	v_add_f32_e32 v156, v156, v159
	v_fmamk_f32 v171, v170, 0x3f3d2fb0, v160
	v_fma_f32 v159, 0x3f3d2fb0, v170, -v160
	v_mul_f32_e32 v160, 0xbe3c28d5, v77
	v_mul_f32_e32 v77, 0x3f65296c, v77
	v_add_f32_e32 v161, v171, v161
	v_add_f32_e32 v159, v159, v162
	v_fma_f32 v162, 0xbf7ba420, v169, -v160
	v_fmac_f32_e32 v160, 0xbf7ba420, v169
	v_add_f32_e32 v162, v162, v164
	v_mul_f32_e32 v164, 0xbe3c28d5, v80
	v_add_f32_e32 v160, v160, v163
	v_mul_f32_e32 v80, 0x3f65296c, v80
	v_fma_f32 v163, 0xbf7ba420, v170, -v164
	v_fmamk_f32 v171, v170, 0xbf7ba420, v164
	v_fma_f32 v164, 0x3ee437d1, v169, -v77
	v_fmac_f32_e32 v77, 0x3ee437d1, v169
	v_add_f32_e32 v163, v163, v166
	v_fmamk_f32 v166, v170, 0x3ee437d1, v80
	v_fma_f32 v80, 0x3ee437d1, v170, -v80
	v_add_f32_e32 v77, v77, v81
	v_add_f32_e32 v81, v76, v78
	v_sub_f32_e32 v76, v76, v78
	v_add_f32_e32 v164, v164, v167
	v_add_f32_e32 v80, v80, v84
	;; [unrolled: 1-line block ×3, first 2 shown]
	v_sub_f32_e32 v73, v73, v75
	v_add_f32_e32 v166, v166, v168
	v_add_f32_e32 v165, v171, v165
	v_mul_f32_e32 v75, 0xbf06c442, v73
	v_fma_f32 v78, 0xbf59a7d5, v81, -v75
	v_fmac_f32_e32 v75, 0xbf59a7d5, v81
	v_add_f32_e32 v78, v78, v82
	v_mul_f32_e32 v82, 0xbf06c442, v76
	v_add_f32_e32 v65, v75, v65
	v_fma_f32 v75, 0xbf59a7d5, v84, -v82
	v_fmamk_f32 v167, v84, 0xbf59a7d5, v82
	v_add_f32_e32 v75, v75, v79
	v_mul_f32_e32 v79, 0x3f65296c, v73
	v_add_f32_e32 v64, v167, v64
	v_fma_f32 v82, 0x3ee437d1, v81, -v79
	v_fmac_f32_e32 v79, 0x3ee437d1, v81
	v_add_f32_e32 v82, v82, v86
	v_mul_f32_e32 v86, 0x3f65296c, v76
	v_add_f32_e32 v79, v79, v83
	v_fma_f32 v83, 0x3ee437d1, v84, -v86
	v_fmamk_f32 v167, v84, 0x3ee437d1, v86
	v_add_f32_e32 v83, v83, v85
	v_mul_f32_e32 v85, 0xbf7ee86f, v73
	v_add_f32_e32 v88, v167, v88
	v_fma_f32 v86, 0x3dbcf732, v81, -v85
	v_fmac_f32_e32 v85, 0x3dbcf732, v81
	v_add_f32_e32 v86, v86, v89
	v_mul_f32_e32 v89, 0xbf7ee86f, v76
	v_add_f32_e32 v85, v85, v87
	v_fmamk_f32 v167, v84, 0x3dbcf732, v89
	v_fma_f32 v87, 0x3dbcf732, v84, -v89
	v_mul_f32_e32 v89, 0x3f4c4adb, v73
	v_add_f32_e32 v133, v167, v133
	v_add_f32_e32 v87, v87, v90
	v_fma_f32 v90, 0xbf1a4643, v81, -v89
	v_fmac_f32_e32 v89, 0xbf1a4643, v81
	v_add_f32_e32 v90, v90, v134
	v_mul_f32_e32 v134, 0x3f4c4adb, v76
	v_add_f32_e32 v89, v89, v91
	v_fma_f32 v91, 0xbf1a4643, v84, -v134
	v_fmamk_f32 v167, v84, 0xbf1a4643, v134
	v_add_f32_e32 v134, v91, v135
	v_mul_f32_e32 v91, 0xbeb8f4ab, v73
	v_add_f32_e32 v167, v167, v137
	v_fma_f32 v135, 0x3f6eb680, v81, -v91
	v_fmac_f32_e32 v91, 0x3f6eb680, v81
	v_add_f32_e32 v168, v135, v138
	v_mul_f32_e32 v135, 0xbeb8f4ab, v76
	v_add_f32_e32 v169, v91, v136
	v_fma_f32 v91, 0x3f6eb680, v84, -v135
	v_fmamk_f32 v137, v84, 0x3f6eb680, v135
	v_add_f32_e32 v170, v91, v155
	v_mul_f32_e32 v91, 0xbe3c28d5, v73
	;; [unrolled: 10-line block ×3, first 2 shown]
	v_mul_f32_e32 v73, 0xbf763a35, v73
	v_add_f32_e32 v161, v136, v161
	v_fma_f32 v135, 0x3f3d2fb0, v81, -v91
	v_fmac_f32_e32 v91, 0x3f3d2fb0, v81
	v_add_f32_e32 v162, v135, v162
	v_mul_f32_e32 v135, 0x3f2c7751, v76
	v_add_f32_e32 v160, v91, v160
	v_mul_f32_e32 v76, 0xbf763a35, v76
	v_fma_f32 v91, 0x3f3d2fb0, v84, -v135
	v_fmamk_f32 v136, v84, 0x3f3d2fb0, v135
	v_add_f32_e32 v163, v91, v163
	v_fma_f32 v91, 0xbe8c1d8e, v81, -v73
	v_fmac_f32_e32 v73, 0xbe8c1d8e, v81
	v_add_f32_e32 v165, v136, v165
	v_add_f32_e32 v164, v91, v164
	v_fmamk_f32 v91, v84, 0xbe8c1d8e, v76
	v_add_f32_e32 v172, v73, v77
	v_fma_f32 v73, 0xbe8c1d8e, v84, -v76
	v_add_f32_e32 v84, v72, v74
	v_add_f32_e32 v166, v91, v166
	;; [unrolled: 1-line block ×3, first 2 shown]
	v_fma_f32 v71, 0xbf7ba420, v84, -v70
	v_fmac_f32_e32 v70, 0xbf7ba420, v84
	v_add_f32_e32 v155, v71, v78
	v_mul_f32_e32 v71, 0xbe3c28d5, v175
	v_fmamk_f32 v72, v174, 0xbf7ba420, v71
	v_add_f32_e32 v156, v72, v64
	v_add_f32_e32 v64, v70, v65
	v_mul_f32_e32 v70, 0x3eb8f4ab, v176
	v_fma_f32 v65, 0xbf7ba420, v174, -v71
	v_fma_f32 v71, 0x3f6eb680, v84, -v70
	v_add_f32_e32 v65, v65, v75
	v_fmac_f32_e32 v70, 0x3f6eb680, v84
	v_add_f32_e32 v135, v71, v82
	v_mul_f32_e32 v71, 0x3eb8f4ab, v175
	v_add_f32_e32 v70, v70, v79
	v_fmamk_f32 v72, v174, 0x3f6eb680, v71
	v_fma_f32 v71, 0x3f6eb680, v174, -v71
	v_add_f32_e32 v136, v72, v88
	v_mul_f32_e32 v72, 0xbf06c442, v176
	v_add_f32_e32 v71, v71, v83
	v_fma_f32 v73, 0xbf59a7d5, v84, -v72
	v_fmac_f32_e32 v72, 0xbf59a7d5, v84
	v_add_f32_e32 v137, v73, v86
	v_mul_f32_e32 v73, 0xbf06c442, v175
	v_add_f32_e32 v72, v72, v85
	v_mul_f32_e32 v85, 0x3f7ee86f, v176
	v_fmamk_f32 v74, v174, 0xbf59a7d5, v73
	v_fma_f32 v73, 0xbf59a7d5, v174, -v73
	v_add_f32_e32 v138, v74, v133
	v_mul_f32_e32 v74, 0x3f2c7751, v176
	v_add_f32_e32 v73, v73, v87
	v_fma_f32 v75, 0x3f3d2fb0, v84, -v74
	v_fmac_f32_e32 v74, 0x3f3d2fb0, v84
	v_add_f32_e32 v90, v75, v90
	v_mul_f32_e32 v75, 0x3f2c7751, v175
	v_add_f32_e32 v74, v74, v89
	v_fmamk_f32 v76, v174, 0x3f3d2fb0, v75
	v_fma_f32 v75, 0x3f3d2fb0, v174, -v75
	v_add_f32_e32 v91, v76, v167
	v_mul_f32_e32 v76, 0xbf4c4adb, v176
	v_add_f32_e32 v75, v75, v134
	v_fma_f32 v77, 0xbf1a4643, v84, -v76
	v_fmac_f32_e32 v76, 0xbf1a4643, v84
	v_add_f32_e32 v133, v77, v168
	v_mul_f32_e32 v77, 0xbf4c4adb, v175
	v_add_f32_e32 v76, v76, v169
	v_fmamk_f32 v78, v174, 0xbf1a4643, v77
	v_fma_f32 v77, 0xbf1a4643, v174, -v77
	v_add_f32_e32 v134, v78, v157
	v_mul_f32_e32 v78, 0x3f65296c, v176
	v_mul_f32_e32 v157, 0x3f7ee86f, v175
	v_add_f32_e32 v77, v77, v170
	v_fma_f32 v79, 0x3ee437d1, v84, -v78
	v_fmac_f32_e32 v78, 0x3ee437d1, v84
	v_fmamk_f32 v83, v174, 0x3dbcf732, v157
	v_add_f32_e32 v86, v79, v158
	v_mul_f32_e32 v79, 0x3f65296c, v175
	v_add_f32_e32 v83, v83, v166
	v_add_f32_e32 v78, v78, v171
	v_fmamk_f32 v80, v174, 0x3ee437d1, v79
	v_fma_f32 v79, 0x3ee437d1, v174, -v79
	v_add_f32_e32 v87, v80, v161
	v_mul_f32_e32 v80, 0xbf763a35, v176
	v_add_f32_e32 v79, v79, v159
	v_fma_f32 v81, 0xbe8c1d8e, v84, -v80
	v_fmac_f32_e32 v80, 0xbe8c1d8e, v84
	v_add_f32_e32 v88, v81, v162
	v_mul_f32_e32 v81, 0xbf763a35, v175
	v_add_f32_e32 v80, v80, v160
	v_fmamk_f32 v82, v174, 0xbe8c1d8e, v81
	v_fma_f32 v81, 0xbe8c1d8e, v174, -v81
	v_add_f32_e32 v89, v82, v165
	v_fma_f32 v82, 0x3dbcf732, v84, -v85
	v_fmac_f32_e32 v85, 0x3dbcf732, v84
	v_add_f32_e32 v81, v81, v163
	v_add_f32_e32 v82, v82, v164
	;; [unrolled: 1-line block ×3, first 2 shown]
	v_fma_f32 v85, 0x3dbcf732, v174, -v157
	v_add_f32_e32 v85, v85, v173
	ds_write2_b64 v139, v[66:67], v[155:156] offset1:85
	ds_write2_b64 v139, v[135:136], v[137:138] offset0:170 offset1:255
	ds_write2_b64 v147, v[90:91], v[133:134] offset0:84 offset1:169
	ds_write2_b64 v153, v[86:87], v[88:89] offset0:126 offset1:211
	ds_write2_b64 v150, v[82:83], v[84:85] offset0:168 offset1:253
	ds_write2_b64 v154, v[80:81], v[78:79] offset0:82 offset1:167
	ds_write2_b64 v148, v[76:77], v[74:75] offset0:124 offset1:209
	ds_write2_b64 v149, v[72:73], v[70:71] offset0:166 offset1:251
	ds_write_b64 v139, v[64:65] offset:10880
	s_waitcnt lgkmcnt(0)
	s_barrier
	buffer_gl0_inv
	global_load_dwordx2 v[68:69], v[68:69], off offset:1320
	ds_read2_b64 v[64:67], v139 offset1:85
	v_add_co_u32 v70, s0, 0x2d28, v151
	v_add_co_ci_u32_e64 v71, s0, 0, v152, s0
	s_waitcnt vmcnt(0) lgkmcnt(0)
	v_mul_f32_e32 v72, v65, v69
	v_mul_f32_e32 v73, v64, v69
	v_fma_f32 v72, v64, v68, -v72
	v_fmac_f32_e32 v73, v65, v68
	global_load_dwordx2 v[64:65], v[70:71], off offset:680
	s_waitcnt vmcnt(0)
	v_mul_f32_e32 v68, v67, v65
	v_mul_f32_e32 v69, v66, v65
	v_fma_f32 v68, v66, v64, -v68
	v_fmac_f32_e32 v69, v67, v64
	ds_write2_b64 v139, v[72:73], v[68:69] offset1:85
	global_load_dwordx2 v[68:69], v[70:71], off offset:1360
	ds_read2_b64 v[64:67], v139 offset0:170 offset1:255
	s_waitcnt vmcnt(0) lgkmcnt(0)
	v_mul_f32_e32 v72, v65, v69
	v_mul_f32_e32 v73, v64, v69
	v_fma_f32 v72, v64, v68, -v72
	v_fmac_f32_e32 v73, v65, v68
	global_load_dwordx2 v[64:65], v[70:71], off offset:2040
	s_waitcnt vmcnt(0)
	v_mul_f32_e32 v68, v67, v65
	v_mul_f32_e32 v69, v66, v65
	v_fma_f32 v68, v66, v64, -v68
	v_fmac_f32_e32 v69, v67, v64
	ds_read2_b64 v[64:67], v147 offset0:84 offset1:169
	ds_write2_b64 v139, v[72:73], v[68:69] offset0:170 offset1:255
	v_add_co_u32 v68, s0, 0x3000, v151
	v_add_co_ci_u32_e64 v69, s0, 0, v152, s0
	global_load_dwordx2 v[68:69], v[68:69], off offset:1992
	s_waitcnt vmcnt(0) lgkmcnt(1)
	v_mul_f32_e32 v70, v65, v69
	v_mul_f32_e32 v71, v64, v69
	v_fma_f32 v70, v64, v68, -v70
	v_fmac_f32_e32 v71, v65, v68
	v_add_co_u32 v68, s0, 0x3800, v151
	v_add_co_ci_u32_e64 v69, s0, 0, v152, s0
	global_load_dwordx2 v[64:65], v[68:69], off offset:624
	s_waitcnt vmcnt(0)
	v_mul_f32_e32 v72, v67, v65
	v_mul_f32_e32 v73, v66, v65
	v_fma_f32 v72, v66, v64, -v72
	v_fmac_f32_e32 v73, v67, v64
	ds_read2_b64 v[64:67], v153 offset0:126 offset1:211
	ds_write2_b64 v147, v[70:71], v[72:73] offset0:84 offset1:169
	global_load_dwordx2 v[70:71], v[68:69], off offset:1304
	s_waitcnt vmcnt(0) lgkmcnt(1)
	v_mul_f32_e32 v72, v65, v71
	v_mul_f32_e32 v73, v64, v71
	v_fma_f32 v72, v64, v70, -v72
	v_fmac_f32_e32 v73, v65, v70
	global_load_dwordx2 v[64:65], v[68:69], off offset:1984
	s_waitcnt vmcnt(0)
	v_mul_f32_e32 v68, v67, v65
	v_mul_f32_e32 v69, v66, v65
	v_fma_f32 v68, v66, v64, -v68
	v_fmac_f32_e32 v69, v67, v64
	ds_read2_b64 v[64:67], v150 offset0:168 offset1:253
	ds_write2_b64 v153, v[72:73], v[68:69] offset0:126 offset1:211
	v_add_co_u32 v68, s0, 0x4000, v151
	v_add_co_ci_u32_e64 v69, s0, 0, v152, s0
	global_load_dwordx2 v[70:71], v[68:69], off offset:616
	s_waitcnt vmcnt(0) lgkmcnt(1)
	v_mul_f32_e32 v72, v65, v71
	v_mul_f32_e32 v73, v64, v71
	v_fma_f32 v72, v64, v70, -v72
	v_fmac_f32_e32 v73, v65, v70
	s_clause 0x1
	global_load_dwordx2 v[64:65], v[68:69], off offset:1296
	global_load_dwordx2 v[68:69], v[68:69], off offset:1976
	s_waitcnt vmcnt(1)
	v_mul_f32_e32 v70, v67, v65
	v_mul_f32_e32 v71, v66, v65
	v_fma_f32 v70, v66, v64, -v70
	v_fmac_f32_e32 v71, v67, v64
	ds_read2_b64 v[64:67], v154 offset0:82 offset1:167
	ds_write2_b64 v150, v[72:73], v[70:71] offset0:168 offset1:253
	s_waitcnt vmcnt(0) lgkmcnt(1)
	v_mul_f32_e32 v70, v65, v69
	v_mul_f32_e32 v71, v64, v69
	v_fma_f32 v70, v64, v68, -v70
	v_fmac_f32_e32 v71, v65, v68
	v_add_co_u32 v68, s0, 0x4800, v151
	v_add_co_ci_u32_e64 v69, s0, 0, v152, s0
	global_load_dwordx2 v[64:65], v[68:69], off offset:608
	s_waitcnt vmcnt(0)
	v_mul_f32_e32 v72, v67, v65
	v_mul_f32_e32 v73, v66, v65
	v_fma_f32 v72, v66, v64, -v72
	v_fmac_f32_e32 v73, v67, v64
	ds_read2_b64 v[64:67], v148 offset0:124 offset1:209
	ds_write2_b64 v154, v[70:71], v[72:73] offset0:82 offset1:167
	global_load_dwordx2 v[70:71], v[68:69], off offset:1288
	s_waitcnt vmcnt(0) lgkmcnt(1)
	v_mul_f32_e32 v72, v65, v71
	v_mul_f32_e32 v73, v64, v71
	v_fma_f32 v72, v64, v70, -v72
	v_fmac_f32_e32 v73, v65, v70
	global_load_dwordx2 v[64:65], v[68:69], off offset:1968
	s_waitcnt vmcnt(0)
	v_mul_f32_e32 v68, v67, v65
	v_mul_f32_e32 v69, v66, v65
	v_fma_f32 v68, v66, v64, -v68
	v_fmac_f32_e32 v69, v67, v64
	ds_read2_b64 v[64:67], v149 offset0:166 offset1:251
	ds_write2_b64 v148, v[72:73], v[68:69] offset0:124 offset1:209
	v_add_co_u32 v68, s0, 0x5000, v151
	v_add_co_ci_u32_e64 v69, s0, 0, v152, s0
	global_load_dwordx2 v[70:71], v[68:69], off offset:600
	s_waitcnt vmcnt(0) lgkmcnt(1)
	v_mul_f32_e32 v72, v65, v71
	v_mul_f32_e32 v73, v64, v71
	v_fma_f32 v72, v64, v70, -v72
	v_fmac_f32_e32 v73, v65, v70
	global_load_dwordx2 v[64:65], v[68:69], off offset:1280
	s_waitcnt vmcnt(0)
	v_mul_f32_e32 v70, v67, v65
	v_mul_f32_e32 v71, v66, v65
	v_fma_f32 v70, v66, v64, -v70
	v_fmac_f32_e32 v71, v67, v64
	global_load_dwordx2 v[66:67], v[68:69], off offset:1960
	ds_read_b64 v[64:65], v139 offset:10880
	ds_write2_b64 v149, v[72:73], v[70:71] offset0:166 offset1:251
	s_waitcnt vmcnt(0) lgkmcnt(1)
	v_mul_f32_e32 v68, v65, v67
	v_mul_f32_e32 v69, v64, v67
	v_fma_f32 v68, v64, v66, -v68
	v_fmac_f32_e32 v69, v65, v66
	ds_write_b64 v139, v[68:69] offset:10880
	s_waitcnt lgkmcnt(0)
	s_barrier
	buffer_gl0_inv
	ds_read2_b64 v[78:81], v139 offset1:85
	ds_read2_b64 v[82:85], v139 offset0:170 offset1:255
	ds_read2_b64 v[86:89], v147 offset0:84 offset1:169
	;; [unrolled: 1-line block ×7, first 2 shown]
	ds_read_b64 v[90:91], v139 offset:10880
	s_waitcnt lgkmcnt(0)
	s_barrier
	buffer_gl0_inv
	v_add_f32_e32 v76, v78, v80
	v_add_f32_e32 v77, v79, v81
	;; [unrolled: 1-line block ×5, first 2 shown]
	v_sub_f32_e32 v81, v81, v91
	v_add_f32_e32 v76, v76, v84
	v_add_f32_e32 v77, v77, v85
	v_add_f32_e32 v137, v90, v80
	v_sub_f32_e32 v80, v80, v90
	v_mul_f32_e32 v157, 0xbf2c7751, v81
	v_add_f32_e32 v76, v76, v86
	v_add_f32_e32 v77, v77, v87
	v_mul_f32_e32 v161, 0xbf65296c, v81
	v_mul_f32_e32 v165, 0xbf7ee86f, v81
	;; [unrolled: 1-line block ×3, first 2 shown]
	v_add_f32_e32 v76, v76, v88
	v_add_f32_e32 v77, v77, v89
	v_mul_f32_e32 v173, 0xbf4c4adb, v81
	v_mul_f32_e32 v177, 0xbf06c442, v81
	v_fmamk_f32 v158, v137, 0x3f3d2fb0, v157
	v_add_f32_e32 v76, v76, v68
	v_add_f32_e32 v77, v77, v69
	v_fma_f32 v157, 0x3f3d2fb0, v137, -v157
	v_fmamk_f32 v162, v137, 0x3ee437d1, v161
	v_fma_f32 v161, 0x3ee437d1, v137, -v161
	v_add_f32_e32 v76, v76, v70
	v_add_f32_e32 v77, v77, v71
	v_fmamk_f32 v166, v137, 0x3dbcf732, v165
	v_fma_f32 v165, 0x3dbcf732, v137, -v165
	v_fmamk_f32 v170, v137, 0xbe8c1d8e, v169
	v_add_f32_e32 v76, v76, v64
	v_add_f32_e32 v77, v77, v65
	v_fma_f32 v169, 0xbe8c1d8e, v137, -v169
	v_fmamk_f32 v174, v137, 0xbf1a4643, v173
	v_fma_f32 v173, 0xbf1a4643, v137, -v173
	v_add_f32_e32 v76, v76, v66
	v_add_f32_e32 v77, v77, v67
	v_fmamk_f32 v178, v137, 0xbf59a7d5, v177
	v_fma_f32 v177, 0xbf59a7d5, v137, -v177
	v_mul_f32_e32 v155, 0x3f6eb680, v138
	v_add_f32_e32 v76, v76, v72
	v_add_f32_e32 v77, v77, v73
	v_add_f32_e32 v158, v78, v158
	v_mul_f32_e32 v159, 0x3f3d2fb0, v138
	v_add_f32_e32 v157, v78, v157
	v_add_f32_e32 v76, v76, v74
	v_add_f32_e32 v77, v77, v75
	v_add_f32_e32 v162, v78, v162
	v_mul_f32_e32 v163, 0x3ee437d1, v138
	v_add_f32_e32 v161, v78, v161
	;; [unrolled: 5-line block ×6, first 2 shown]
	v_add_f32_e32 v76, v76, v90
	v_mul_f32_e32 v90, 0xbeb8f4ab, v81
	v_mul_f32_e32 v81, 0xbe3c28d5, v81
	v_add_f32_e32 v77, v77, v91
	v_mul_f32_e32 v138, 0xbf7ba420, v138
	v_fmamk_f32 v156, v80, 0x3eb8f4ab, v155
	v_fmamk_f32 v91, v137, 0x3f6eb680, v90
	v_fma_f32 v90, 0x3f6eb680, v137, -v90
	v_fmamk_f32 v181, v137, 0xbf7ba420, v81
	v_fma_f32 v81, 0xbf7ba420, v137, -v81
	v_fmac_f32_e32 v155, 0xbeb8f4ab, v80
	v_add_f32_e32 v91, v78, v91
	v_add_f32_e32 v90, v78, v90
	;; [unrolled: 1-line block ×5, first 2 shown]
	v_sub_f32_e32 v83, v83, v154
	v_fmamk_f32 v160, v80, 0x3f2c7751, v159
	v_fmac_f32_e32 v159, 0xbf2c7751, v80
	v_fmamk_f32 v164, v80, 0x3f65296c, v163
	v_fmac_f32_e32 v163, 0xbf65296c, v80
	v_fmamk_f32 v168, v80, 0x3f7ee86f, v167
	v_fmac_f32_e32 v167, 0xbf7ee86f, v80
	v_fmamk_f32 v172, v80, 0x3f763a35, v171
	v_fmac_f32_e32 v171, 0xbf763a35, v80
	v_fmamk_f32 v176, v80, 0x3f4c4adb, v175
	v_fmac_f32_e32 v175, 0xbf4c4adb, v80
	v_fmamk_f32 v180, v80, 0x3f06c442, v179
	v_fmac_f32_e32 v179, 0xbf06c442, v80
	v_fmamk_f32 v182, v80, 0x3e3c28d5, v138
	v_fmac_f32_e32 v138, 0xbe3c28d5, v80
	v_add_f32_e32 v80, v153, v82
	v_mul_f32_e32 v137, 0xbf2c7751, v83
	v_add_f32_e32 v156, v79, v156
	v_add_f32_e32 v155, v79, v155
	;; [unrolled: 1-line block ×16, first 2 shown]
	v_fmamk_f32 v138, v80, 0x3f3d2fb0, v137
	v_sub_f32_e32 v82, v82, v153
	v_fma_f32 v137, 0x3f3d2fb0, v80, -v137
	v_add_f32_e32 v91, v138, v91
	v_mul_f32_e32 v138, 0x3f3d2fb0, v81
	v_add_f32_e32 v90, v137, v90
	v_fmamk_f32 v153, v82, 0x3f2c7751, v138
	v_fmac_f32_e32 v138, 0xbf2c7751, v82
	v_add_f32_e32 v153, v153, v156
	v_add_f32_e32 v137, v138, v155
	v_mul_f32_e32 v138, 0xbf7ee86f, v83
	v_mul_f32_e32 v155, 0x3dbcf732, v81
	v_fmamk_f32 v154, v80, 0x3dbcf732, v138
	v_fma_f32 v138, 0x3dbcf732, v80, -v138
	v_fmamk_f32 v156, v82, 0x3f7ee86f, v155
	v_fmac_f32_e32 v155, 0xbf7ee86f, v82
	v_add_f32_e32 v154, v154, v158
	v_add_f32_e32 v138, v138, v157
	v_mul_f32_e32 v157, 0xbf4c4adb, v83
	v_add_f32_e32 v155, v155, v159
	v_mul_f32_e32 v159, 0xbf1a4643, v81
	v_add_f32_e32 v156, v156, v160
	v_fmamk_f32 v158, v80, 0xbf1a4643, v157
	v_fma_f32 v157, 0xbf1a4643, v80, -v157
	v_fmamk_f32 v160, v82, 0x3f4c4adb, v159
	v_fmac_f32_e32 v159, 0xbf4c4adb, v82
	v_add_f32_e32 v158, v158, v162
	v_add_f32_e32 v157, v157, v161
	v_mul_f32_e32 v161, 0xbe3c28d5, v83
	v_add_f32_e32 v159, v159, v163
	v_mul_f32_e32 v163, 0xbf7ba420, v81
	v_add_f32_e32 v160, v160, v164
	;; [unrolled: 10-line block ×4, first 2 shown]
	v_fmamk_f32 v170, v80, 0xbe8c1d8e, v169
	v_fma_f32 v169, 0xbe8c1d8e, v80, -v169
	v_fmamk_f32 v172, v82, 0xbf763a35, v171
	v_fmac_f32_e32 v171, 0x3f763a35, v82
	v_add_f32_e32 v170, v170, v174
	v_add_f32_e32 v169, v169, v173
	v_mul_f32_e32 v173, 0x3f65296c, v83
	v_mul_f32_e32 v83, 0x3eb8f4ab, v83
	v_add_f32_e32 v171, v171, v175
	v_mul_f32_e32 v175, 0x3ee437d1, v81
	v_mul_f32_e32 v81, 0x3f6eb680, v81
	v_fmamk_f32 v174, v80, 0x3ee437d1, v173
	v_fma_f32 v173, 0x3ee437d1, v80, -v173
	v_add_f32_e32 v172, v172, v176
	v_fmamk_f32 v176, v82, 0xbf65296c, v175
	v_fmac_f32_e32 v175, 0x3f65296c, v82
	v_add_f32_e32 v174, v174, v178
	v_add_f32_e32 v173, v173, v177
	v_fmamk_f32 v177, v80, 0x3f6eb680, v83
	v_fma_f32 v80, 0x3f6eb680, v80, -v83
	v_sub_f32_e32 v83, v85, v152
	v_fmamk_f32 v178, v82, 0xbeb8f4ab, v81
	v_fmac_f32_e32 v81, 0x3eb8f4ab, v82
	v_sub_f32_e32 v82, v84, v151
	v_add_f32_e32 v78, v80, v78
	v_add_f32_e32 v80, v151, v84
	v_mul_f32_e32 v84, 0xbf65296c, v83
	v_add_f32_e32 v79, v81, v79
	v_add_f32_e32 v81, v152, v85
	;; [unrolled: 1-line block ×4, first 2 shown]
	v_fmamk_f32 v85, v80, 0x3ee437d1, v84
	v_fma_f32 v84, 0x3ee437d1, v80, -v84
	v_mul_f32_e32 v152, 0xbf1a4643, v81
	v_add_f32_e32 v177, v177, v181
	v_add_f32_e32 v178, v178, v182
	;; [unrolled: 1-line block ×3, first 2 shown]
	v_mul_f32_e32 v91, 0x3ee437d1, v81
	v_add_f32_e32 v84, v84, v90
	v_fmamk_f32 v151, v82, 0x3f65296c, v91
	v_fmac_f32_e32 v91, 0xbf65296c, v82
	v_add_f32_e32 v151, v151, v153
	v_add_f32_e32 v90, v91, v137
	v_mul_f32_e32 v91, 0xbf4c4adb, v83
	v_fmamk_f32 v153, v82, 0x3f4c4adb, v152
	v_fmac_f32_e32 v152, 0xbf4c4adb, v82
	v_fmamk_f32 v137, v80, 0xbf1a4643, v91
	v_fma_f32 v91, 0xbf1a4643, v80, -v91
	v_add_f32_e32 v153, v153, v156
	v_add_f32_e32 v137, v137, v154
	;; [unrolled: 1-line block ×4, first 2 shown]
	v_mul_f32_e32 v152, 0x3e3c28d5, v83
	v_mul_f32_e32 v155, 0xbf7ba420, v81
	v_fmamk_f32 v154, v80, 0xbf7ba420, v152
	v_fma_f32 v152, 0xbf7ba420, v80, -v152
	v_fmamk_f32 v156, v82, 0xbe3c28d5, v155
	v_fmac_f32_e32 v155, 0x3e3c28d5, v82
	v_add_f32_e32 v154, v154, v158
	v_add_f32_e32 v152, v152, v157
	v_mul_f32_e32 v157, 0x3f763a35, v83
	v_add_f32_e32 v155, v155, v159
	v_mul_f32_e32 v159, 0xbe8c1d8e, v81
	v_add_f32_e32 v156, v156, v160
	v_fmamk_f32 v158, v80, 0xbe8c1d8e, v157
	v_fma_f32 v157, 0xbe8c1d8e, v80, -v157
	v_fmamk_f32 v160, v82, 0xbf763a35, v159
	v_fmac_f32_e32 v159, 0x3f763a35, v82
	v_add_f32_e32 v158, v158, v162
	v_add_f32_e32 v157, v157, v161
	v_mul_f32_e32 v161, 0x3f2c7751, v83
	v_add_f32_e32 v159, v159, v163
	v_mul_f32_e32 v163, 0x3f3d2fb0, v81
	v_add_f32_e32 v160, v160, v164
	;; [unrolled: 10-line block ×3, first 2 shown]
	v_fmamk_f32 v166, v80, 0x3f6eb680, v165
	v_fma_f32 v165, 0x3f6eb680, v80, -v165
	v_fmamk_f32 v168, v82, 0x3eb8f4ab, v167
	v_fmac_f32_e32 v167, 0xbeb8f4ab, v82
	v_add_f32_e32 v166, v166, v170
	v_add_f32_e32 v165, v165, v169
	v_mul_f32_e32 v169, 0xbf7ee86f, v83
	v_mul_f32_e32 v83, 0xbf06c442, v83
	v_add_f32_e32 v167, v167, v171
	v_mul_f32_e32 v171, 0x3dbcf732, v81
	v_mul_f32_e32 v81, 0xbf59a7d5, v81
	v_fmamk_f32 v170, v80, 0x3dbcf732, v169
	v_fma_f32 v169, 0x3dbcf732, v80, -v169
	v_add_f32_e32 v168, v168, v172
	v_fmamk_f32 v172, v82, 0x3f7ee86f, v171
	v_fmac_f32_e32 v171, 0xbf7ee86f, v82
	v_add_f32_e32 v170, v170, v174
	v_add_f32_e32 v169, v169, v173
	v_fmamk_f32 v173, v80, 0xbf59a7d5, v83
	v_fma_f32 v80, 0xbf59a7d5, v80, -v83
	v_sub_f32_e32 v83, v87, v136
	v_fmamk_f32 v174, v82, 0x3f06c442, v81
	v_fmac_f32_e32 v81, 0xbf06c442, v82
	v_sub_f32_e32 v82, v86, v135
	v_add_f32_e32 v78, v80, v78
	v_add_f32_e32 v80, v135, v86
	v_mul_f32_e32 v86, 0xbf7ee86f, v83
	v_add_f32_e32 v79, v81, v79
	v_add_f32_e32 v81, v136, v87
	v_add_f32_e32 v172, v172, v176
	v_add_f32_e32 v171, v171, v175
	v_fmamk_f32 v87, v80, 0x3dbcf732, v86
	v_fma_f32 v86, 0x3dbcf732, v80, -v86
	v_mul_f32_e32 v136, 0xbf7ba420, v81
	v_add_f32_e32 v173, v173, v177
	v_sub_f32_e32 v176, v89, v134
	v_add_f32_e32 v85, v87, v85
	v_mul_f32_e32 v87, 0x3dbcf732, v81
	v_add_f32_e32 v84, v86, v84
	v_add_f32_e32 v174, v174, v178
	v_sub_f32_e32 v175, v88, v133
	v_fmamk_f32 v135, v82, 0x3f7ee86f, v87
	v_fmac_f32_e32 v87, 0xbf7ee86f, v82
	v_add_f32_e32 v135, v135, v151
	v_add_f32_e32 v86, v87, v90
	v_mul_f32_e32 v87, 0xbe3c28d5, v83
	v_mul_f32_e32 v151, 0xbe8c1d8e, v81
	v_fmamk_f32 v90, v80, 0xbf7ba420, v87
	v_fma_f32 v87, 0xbf7ba420, v80, -v87
	v_add_f32_e32 v90, v90, v137
	v_fmamk_f32 v137, v82, 0x3e3c28d5, v136
	v_fmac_f32_e32 v136, 0xbe3c28d5, v82
	v_add_f32_e32 v87, v87, v91
	v_add_f32_e32 v137, v137, v153
	v_add_f32_e32 v91, v136, v138
	v_mul_f32_e32 v136, 0x3f763a35, v83
	v_fmamk_f32 v153, v82, 0xbf763a35, v151
	v_fmac_f32_e32 v151, 0x3f763a35, v82
	v_fmamk_f32 v138, v80, 0xbe8c1d8e, v136
	v_fma_f32 v136, 0xbe8c1d8e, v80, -v136
	v_add_f32_e32 v151, v151, v155
	v_mul_f32_e32 v155, 0x3f6eb680, v81
	v_add_f32_e32 v153, v153, v156
	v_add_f32_e32 v138, v138, v154
	v_add_f32_e32 v136, v136, v152
	v_mul_f32_e32 v152, 0x3eb8f4ab, v83
	v_fmamk_f32 v156, v82, 0xbeb8f4ab, v155
	v_fmac_f32_e32 v155, 0x3eb8f4ab, v82
	v_fmamk_f32 v154, v80, 0x3f6eb680, v152
	v_fma_f32 v152, 0x3f6eb680, v80, -v152
	v_add_f32_e32 v155, v155, v159
	v_mul_f32_e32 v159, 0x3ee437d1, v81
	v_add_f32_e32 v156, v156, v160
	v_add_f32_e32 v154, v154, v158
	v_add_f32_e32 v152, v152, v157
	v_mul_f32_e32 v157, 0xbf65296c, v83
	v_fmamk_f32 v160, v82, 0x3f65296c, v159
	v_fmac_f32_e32 v159, 0xbf65296c, v82
	v_fmamk_f32 v158, v80, 0x3ee437d1, v157
	v_fma_f32 v157, 0x3ee437d1, v80, -v157
	v_add_f32_e32 v159, v159, v163
	v_mul_f32_e32 v163, 0xbf59a7d5, v81
	v_add_f32_e32 v160, v160, v164
	v_add_f32_e32 v158, v158, v162
	v_add_f32_e32 v157, v157, v161
	v_mul_f32_e32 v161, 0xbf06c442, v83
	v_fmamk_f32 v164, v82, 0x3f06c442, v163
	v_fmac_f32_e32 v163, 0xbf06c442, v82
	v_fmamk_f32 v162, v80, 0xbf59a7d5, v161
	v_fma_f32 v161, 0xbf59a7d5, v80, -v161
	v_add_f32_e32 v163, v163, v167
	v_mul_f32_e32 v167, 0xbf1a4643, v81
	v_add_f32_e32 v164, v164, v168
	v_add_f32_e32 v162, v162, v166
	;; [unrolled: 1-line block ×3, first 2 shown]
	v_mul_f32_e32 v165, 0x3f4c4adb, v83
	v_mul_f32_e32 v83, 0x3f2c7751, v83
	v_fmamk_f32 v168, v82, 0xbf4c4adb, v167
	v_fmac_f32_e32 v167, 0x3f4c4adb, v82
	v_mul_f32_e32 v81, 0x3f3d2fb0, v81
	v_fmamk_f32 v166, v80, 0xbf1a4643, v165
	v_fma_f32 v165, 0xbf1a4643, v80, -v165
	v_add_f32_e32 v168, v168, v172
	v_add_f32_e32 v167, v167, v171
	;; [unrolled: 1-line block ×4, first 2 shown]
	v_fmamk_f32 v169, v80, 0x3f3d2fb0, v83
	v_fma_f32 v80, 0x3f3d2fb0, v80, -v83
	v_fmamk_f32 v170, v82, 0xbf2c7751, v81
	v_fmac_f32_e32 v81, 0x3f2c7751, v82
	v_add_f32_e32 v169, v169, v173
	v_add_f32_e32 v171, v80, v78
	v_add_f32_e32 v173, v133, v88
	v_mul_f32_e32 v80, 0xbf763a35, v176
	v_mul_f32_e32 v133, 0xbf65296c, v176
	v_add_f32_e32 v170, v170, v174
	v_add_f32_e32 v174, v134, v89
	;; [unrolled: 1-line block ×3, first 2 shown]
	v_fmamk_f32 v78, v173, 0xbe8c1d8e, v80
	v_fma_f32 v80, 0xbe8c1d8e, v173, -v80
	v_mul_f32_e32 v88, 0x3f2c7751, v176
	v_mul_f32_e32 v81, 0xbe8c1d8e, v174
	;; [unrolled: 1-line block ×3, first 2 shown]
	v_add_f32_e32 v78, v78, v85
	v_add_f32_e32 v80, v80, v84
	v_mul_f32_e32 v84, 0x3f06c442, v176
	v_mul_f32_e32 v85, 0xbf59a7d5, v174
	v_fmamk_f32 v79, v175, 0x3f763a35, v81
	v_fmac_f32_e32 v81, 0xbf763a35, v175
	v_mul_f32_e32 v89, 0x3f3d2fb0, v174
	v_fmamk_f32 v82, v173, 0xbf59a7d5, v84
	v_fmamk_f32 v83, v175, 0xbf06c442, v85
	v_add_f32_e32 v79, v79, v135
	v_fmac_f32_e32 v85, 0x3f06c442, v175
	v_add_f32_e32 v81, v81, v86
	v_add_f32_e32 v82, v82, v90
	v_fmamk_f32 v90, v173, 0x3ee437d1, v133
	v_fma_f32 v133, 0x3ee437d1, v173, -v133
	v_add_f32_e32 v83, v83, v137
	v_mul_f32_e32 v137, 0xbe3c28d5, v176
	v_add_f32_e32 v85, v85, v91
	v_add_f32_e32 v90, v90, v154
	v_mul_f32_e32 v154, 0x3dbcf732, v174
	v_add_f32_e32 v133, v133, v152
	v_fmamk_f32 v135, v173, 0xbf7ba420, v137
	v_fma_f32 v137, 0xbf7ba420, v173, -v137
	v_fmamk_f32 v91, v175, 0x3f65296c, v134
	v_fmamk_f32 v152, v175, 0xbf7ee86f, v154
	v_fmac_f32_e32 v154, 0x3f7ee86f, v175
	v_fmac_f32_e32 v134, 0xbf65296c, v175
	v_add_f32_e32 v137, v137, v157
	v_mul_f32_e32 v157, 0xbeb8f4ab, v176
	v_add_f32_e32 v152, v152, v164
	v_add_f32_e32 v164, v75, v69
	v_sub_f32_e32 v69, v69, v75
	v_add_f32_e32 v154, v154, v163
	v_add_f32_e32 v163, v74, v68
	v_sub_f32_e32 v68, v68, v74
	v_add_f32_e32 v134, v134, v155
	v_mul_f32_e32 v74, 0xbf4c4adb, v69
	v_fmamk_f32 v155, v173, 0x3f6eb680, v157
	v_fma_f32 v157, 0x3f6eb680, v173, -v157
	v_fma_f32 v84, 0xbf59a7d5, v173, -v84
	v_fmamk_f32 v86, v173, 0x3f3d2fb0, v88
	v_fmamk_f32 v75, v163, 0xbf1a4643, v74
	v_fma_f32 v74, 0xbf1a4643, v163, -v74
	v_add_f32_e32 v157, v157, v165
	v_add_f32_e32 v84, v84, v87
	;; [unrolled: 1-line block ×4, first 2 shown]
	v_mul_f32_e32 v78, 0xbf1a4643, v164
	v_add_f32_e32 v74, v74, v80
	v_mul_f32_e32 v80, 0x3f763a35, v69
	v_fma_f32 v88, 0x3f3d2fb0, v173, -v88
	v_fmamk_f32 v87, v175, 0xbf2c7751, v89
	v_fmamk_f32 v165, v68, 0x3f4c4adb, v78
	v_fmac_f32_e32 v78, 0xbf4c4adb, v68
	v_fmac_f32_e32 v89, 0x3f2c7751, v175
	v_add_f32_e32 v88, v88, v136
	v_add_f32_e32 v87, v87, v153
	;; [unrolled: 1-line block ×4, first 2 shown]
	v_fmamk_f32 v81, v163, 0xbe8c1d8e, v80
	v_fma_f32 v80, 0xbe8c1d8e, v163, -v80
	v_add_f32_e32 v89, v89, v151
	v_add_f32_e32 v135, v135, v158
	v_mul_f32_e32 v138, 0xbf7ba420, v174
	v_add_f32_e32 v81, v81, v82
	v_mul_f32_e32 v82, 0xbe8c1d8e, v164
	v_add_f32_e32 v80, v80, v84
	v_mul_f32_e32 v84, 0xbeb8f4ab, v69
	v_add_f32_e32 v91, v91, v156
	v_fmamk_f32 v136, v175, 0x3e3c28d5, v138
	v_fmamk_f32 v165, v68, 0xbf763a35, v82
	v_fmac_f32_e32 v82, 0x3f763a35, v68
	v_fmac_f32_e32 v138, 0xbe3c28d5, v175
	v_mul_f32_e32 v153, 0x3f7ee86f, v176
	v_add_f32_e32 v136, v136, v160
	v_add_f32_e32 v83, v165, v83
	;; [unrolled: 1-line block ×3, first 2 shown]
	v_fmamk_f32 v85, v163, 0x3f6eb680, v84
	v_fma_f32 v84, 0x3f6eb680, v163, -v84
	v_add_f32_e32 v138, v138, v159
	v_fmamk_f32 v151, v173, 0x3dbcf732, v153
	v_fma_f32 v153, 0x3dbcf732, v173, -v153
	v_add_f32_e32 v85, v85, v86
	v_mul_f32_e32 v86, 0x3f6eb680, v164
	v_add_f32_e32 v88, v84, v88
	v_mul_f32_e32 v84, 0xbf06c442, v69
	v_add_f32_e32 v151, v151, v162
	v_add_f32_e32 v153, v153, v161
	v_fmamk_f32 v165, v68, 0x3eb8f4ab, v86
	v_fmac_f32_e32 v86, 0xbeb8f4ab, v68
	v_add_f32_e32 v155, v155, v166
	v_mul_f32_e32 v158, 0x3f6eb680, v174
	v_mul_f32_e32 v161, 0xbf4c4adb, v176
	v_add_f32_e32 v87, v165, v87
	v_add_f32_e32 v86, v86, v89
	v_fmamk_f32 v89, v163, 0xbf59a7d5, v84
	v_fma_f32 v84, 0xbf59a7d5, v163, -v84
	v_fmamk_f32 v156, v175, 0x3eb8f4ab, v158
	v_fmac_f32_e32 v158, 0xbeb8f4ab, v175
	v_fmamk_f32 v159, v173, 0xbf1a4643, v161
	v_add_f32_e32 v89, v89, v90
	v_mul_f32_e32 v90, 0xbf59a7d5, v164
	v_add_f32_e32 v133, v84, v133
	v_mul_f32_e32 v84, 0x3f7ee86f, v69
	v_add_f32_e32 v158, v158, v167
	v_add_f32_e32 v159, v159, v169
	v_fmamk_f32 v165, v68, 0x3f06c442, v90
	v_fmac_f32_e32 v90, 0xbf06c442, v68
	v_mul_f32_e32 v162, 0xbf1a4643, v174
	v_add_f32_e32 v156, v156, v168
	v_fma_f32 v161, 0xbf1a4643, v173, -v161
	v_add_f32_e32 v91, v165, v91
	v_add_f32_e32 v90, v90, v134
	v_fmamk_f32 v134, v163, 0x3dbcf732, v84
	v_fma_f32 v84, 0x3dbcf732, v163, -v84
	v_fmamk_f32 v160, v175, 0x3f4c4adb, v162
	v_fmac_f32_e32 v162, 0xbf4c4adb, v175
	v_add_f32_e32 v161, v161, v171
	v_add_f32_e32 v134, v134, v135
	v_mul_f32_e32 v135, 0x3dbcf732, v164
	v_add_f32_e32 v137, v84, v137
	v_mul_f32_e32 v84, 0xbf2c7751, v69
	v_add_f32_e32 v160, v160, v170
	v_add_f32_e32 v162, v162, v172
	v_fmamk_f32 v165, v68, 0xbf7ee86f, v135
	v_fmac_f32_e32 v135, 0x3f7ee86f, v68
	v_sub_f32_e32 v169, v65, v67
	v_add_f32_e32 v166, v66, v64
	v_sub_f32_e32 v168, v64, v66
	v_add_f32_e32 v136, v165, v136
	v_add_f32_e32 v135, v135, v138
	v_fmamk_f32 v138, v163, 0x3f3d2fb0, v84
	v_fma_f32 v84, 0x3f3d2fb0, v163, -v84
	v_mul_f32_e32 v64, 0xbe3c28d5, v169
	v_add_f32_e32 v167, v67, v65
	v_add_f32_e32 v138, v138, v151
	v_mul_f32_e32 v151, 0x3f3d2fb0, v164
	v_add_f32_e32 v153, v84, v153
	v_mul_f32_e32 v84, 0xbe3c28d5, v69
	v_mul_f32_e32 v69, 0x3f65296c, v69
	v_fmamk_f32 v65, v166, 0xbf7ba420, v64
	v_fmamk_f32 v165, v68, 0x3f2c7751, v151
	v_fmac_f32_e32 v151, 0xbf2c7751, v68
	v_fma_f32 v64, 0xbf7ba420, v166, -v64
	v_add_f32_e32 v152, v165, v152
	v_add_f32_e32 v151, v151, v154
	v_fmamk_f32 v154, v163, 0xbf7ba420, v84
	v_fma_f32 v84, 0xbf7ba420, v163, -v84
	v_add_f32_e32 v154, v154, v155
	v_mul_f32_e32 v155, 0xbf7ba420, v164
	v_add_f32_e32 v157, v84, v157
	v_fmamk_f32 v84, v163, 0x3ee437d1, v69
	v_fma_f32 v69, 0x3ee437d1, v163, -v69
	v_add_f32_e32 v163, v73, v71
	v_fmamk_f32 v165, v68, 0x3e3c28d5, v155
	v_fmac_f32_e32 v155, 0xbe3c28d5, v68
	v_add_f32_e32 v156, v165, v156
	v_add_f32_e32 v155, v155, v158
	;; [unrolled: 1-line block ×3, first 2 shown]
	v_mul_f32_e32 v84, 0x3ee437d1, v164
	v_sub_f32_e32 v165, v71, v73
	v_sub_f32_e32 v164, v70, v72
	v_fmamk_f32 v159, v68, 0xbf65296c, v84
	v_fmac_f32_e32 v84, 0x3f65296c, v68
	v_mul_f32_e32 v73, 0x3f65296c, v165
	v_add_f32_e32 v159, v159, v160
	v_add_f32_e32 v160, v69, v161
	;; [unrolled: 1-line block ×4, first 2 shown]
	v_mul_f32_e32 v69, 0xbf06c442, v165
	v_mul_f32_e32 v70, 0xbf59a7d5, v163
	v_fmamk_f32 v71, v162, 0x3ee437d1, v73
	v_fmamk_f32 v68, v162, 0xbf59a7d5, v69
	v_fma_f32 v69, 0xbf59a7d5, v162, -v69
	v_fma_f32 v73, 0x3ee437d1, v162, -v73
	v_add_f32_e32 v71, v71, v81
	v_add_f32_e32 v84, v68, v75
	v_fmamk_f32 v68, v164, 0x3f06c442, v70
	v_add_f32_e32 v69, v69, v74
	v_mul_f32_e32 v74, 0x3ee437d1, v163
	v_fmac_f32_e32 v70, 0xbf06c442, v164
	v_add_f32_e32 v73, v73, v80
	v_add_f32_e32 v68, v68, v79
	v_mul_f32_e32 v79, 0xbf7ee86f, v165
	v_fmamk_f32 v72, v164, 0xbf65296c, v74
	v_fmac_f32_e32 v74, 0x3f65296c, v164
	v_mul_f32_e32 v80, 0x3dbcf732, v163
	v_add_f32_e32 v70, v70, v78
	v_fmamk_f32 v75, v162, 0x3dbcf732, v79
	v_add_f32_e32 v72, v72, v83
	v_add_f32_e32 v74, v74, v82
	v_fmamk_f32 v78, v164, 0x3f7ee86f, v80
	v_fmac_f32_e32 v80, 0xbf7ee86f, v164
	v_add_f32_e32 v75, v75, v85
	v_mul_f32_e32 v85, 0xbf1a4643, v163
	v_mul_f32_e32 v83, 0x3f4c4adb, v165
	v_add_f32_e32 v78, v78, v87
	v_add_f32_e32 v80, v80, v86
	v_fma_f32 v79, 0x3dbcf732, v162, -v79
	v_fmamk_f32 v82, v164, 0xbf4c4adb, v85
	v_fmac_f32_e32 v85, 0x3f4c4adb, v164
	v_fmamk_f32 v81, v162, 0xbf1a4643, v83
	v_fma_f32 v83, 0xbf1a4643, v162, -v83
	v_add_f32_e32 v79, v79, v88
	v_add_f32_e32 v82, v82, v91
	;; [unrolled: 1-line block ×3, first 2 shown]
	v_mul_f32_e32 v85, 0xbeb8f4ab, v165
	v_add_f32_e32 v81, v81, v89
	v_add_f32_e32 v83, v83, v133
	v_mul_f32_e32 v133, 0xbf7ba420, v163
	v_mul_f32_e32 v90, 0x3f6eb680, v163
	v_fmamk_f32 v87, v162, 0x3f6eb680, v85
	v_fma_f32 v85, 0x3f6eb680, v162, -v85
	v_fmamk_f32 v88, v164, 0x3eb8f4ab, v90
	v_add_f32_e32 v87, v87, v134
	v_add_f32_e32 v89, v85, v137
	v_mul_f32_e32 v85, 0xbe3c28d5, v165
	v_fmamk_f32 v134, v164, 0x3e3c28d5, v133
	v_fmac_f32_e32 v133, 0xbe3c28d5, v164
	v_fmac_f32_e32 v90, 0xbeb8f4ab, v164
	v_add_f32_e32 v88, v88, v136
	v_fmamk_f32 v91, v162, 0xbf7ba420, v85
	v_fma_f32 v85, 0xbf7ba420, v162, -v85
	v_add_f32_e32 v151, v133, v151
	v_add_f32_e32 v137, v134, v152
	v_add_f32_e32 v90, v90, v135
	v_add_f32_e32 v91, v91, v138
	v_add_f32_e32 v138, v85, v153
	v_mul_f32_e32 v85, 0x3f2c7751, v165
	v_add_f32_e32 v135, v64, v69
	v_mul_f32_e32 v64, 0x3eb8f4ab, v169
	v_fmamk_f32 v133, v162, 0x3f3d2fb0, v85
	v_fma_f32 v85, 0x3f3d2fb0, v162, -v85
	v_add_f32_e32 v152, v133, v154
	v_mul_f32_e32 v133, 0x3f3d2fb0, v163
	v_add_f32_e32 v154, v85, v157
	v_mul_f32_e32 v85, 0xbf763a35, v165
	v_fmamk_f32 v134, v164, 0xbf2c7751, v133
	v_fmac_f32_e32 v133, 0x3f2c7751, v164
	v_add_f32_e32 v153, v134, v156
	v_add_f32_e32 v155, v133, v155
	v_fmamk_f32 v133, v162, 0xbe8c1d8e, v85
	v_fma_f32 v85, 0xbe8c1d8e, v162, -v85
	v_add_f32_e32 v156, v133, v158
	v_add_f32_e32 v158, v85, v160
	;; [unrolled: 1-line block ×3, first 2 shown]
	v_mul_f32_e32 v65, 0xbf7ba420, v167
	v_mul_f32_e32 v133, 0xbe8c1d8e, v163
	v_fmamk_f32 v66, v168, 0x3e3c28d5, v65
	v_fmac_f32_e32 v65, 0xbe3c28d5, v168
	v_fmamk_f32 v134, v164, 0x3f763a35, v133
	v_fmac_f32_e32 v133, 0xbf763a35, v164
	v_add_f32_e32 v136, v65, v70
	v_fmamk_f32 v65, v166, 0x3f6eb680, v64
	v_fma_f32 v64, 0x3f6eb680, v166, -v64
	v_add_f32_e32 v157, v134, v159
	v_add_f32_e32 v159, v133, v161
	;; [unrolled: 1-line block ×4, first 2 shown]
	v_mul_f32_e32 v65, 0x3f6eb680, v167
	v_add_f32_e32 v133, v64, v73
	v_mul_f32_e32 v64, 0xbf06c442, v169
	v_fmamk_f32 v66, v168, 0xbeb8f4ab, v65
	v_fmac_f32_e32 v65, 0x3eb8f4ab, v168
	v_add_f32_e32 v163, v66, v72
	v_add_f32_e32 v134, v65, v74
	v_fmamk_f32 v65, v166, 0xbf59a7d5, v64
	v_fma_f32 v64, 0xbf59a7d5, v166, -v64
	v_add_f32_e32 v164, v65, v75
	v_mul_f32_e32 v65, 0xbf59a7d5, v167
	v_add_f32_e32 v64, v64, v79
	v_mul_f32_e32 v79, 0x3dbcf732, v167
	v_fmamk_f32 v66, v168, 0x3f06c442, v65
	v_fmac_f32_e32 v65, 0xbf06c442, v168
	v_fmamk_f32 v75, v168, 0xbf7ee86f, v79
	v_fmac_f32_e32 v79, 0x3f7ee86f, v168
	v_add_f32_e32 v165, v66, v78
	v_mul_f32_e32 v66, 0x3f2c7751, v169
	v_add_f32_e32 v65, v65, v80
	v_mul_f32_e32 v78, 0x3f7ee86f, v169
	v_add_f32_e32 v75, v75, v157
	v_add_f32_e32 v79, v79, v159
	v_fmamk_f32 v67, v166, 0x3f3d2fb0, v66
	v_fma_f32 v66, 0x3f3d2fb0, v166, -v66
	v_add_f32_e32 v84, v67, v81
	v_mul_f32_e32 v67, 0x3f3d2fb0, v167
	v_add_f32_e32 v66, v66, v83
	v_fmamk_f32 v68, v168, 0xbf2c7751, v67
	v_fmac_f32_e32 v67, 0x3f2c7751, v168
	v_add_f32_e32 v85, v68, v82
	v_mul_f32_e32 v68, 0xbf4c4adb, v169
	v_add_f32_e32 v67, v67, v86
	v_fmamk_f32 v69, v166, 0xbf1a4643, v68
	v_fma_f32 v68, 0xbf1a4643, v166, -v68
	v_add_f32_e32 v86, v69, v87
	v_mul_f32_e32 v69, 0xbf1a4643, v167
	v_add_f32_e32 v68, v68, v89
	v_fmamk_f32 v70, v168, 0x3f4c4adb, v69
	v_fmac_f32_e32 v69, 0xbf4c4adb, v168
	v_add_f32_e32 v87, v70, v88
	v_mul_f32_e32 v70, 0x3f65296c, v169
	;; [unrolled: 10-line block ×3, first 2 shown]
	v_add_f32_e32 v71, v71, v151
	v_fmamk_f32 v73, v166, 0xbe8c1d8e, v72
	v_fma_f32 v72, 0xbe8c1d8e, v166, -v72
	v_add_f32_e32 v82, v73, v152
	v_mul_f32_e32 v73, 0xbe8c1d8e, v167
	v_add_f32_e32 v72, v72, v154
	v_fmamk_f32 v74, v168, 0x3f763a35, v73
	v_fmac_f32_e32 v73, 0xbf763a35, v168
	v_add_f32_e32 v83, v74, v153
	v_fmamk_f32 v74, v166, 0x3dbcf732, v78
	v_fma_f32 v78, 0x3dbcf732, v166, -v78
	v_add_f32_e32 v73, v73, v155
	v_add_f32_e32 v74, v74, v156
	;; [unrolled: 1-line block ×3, first 2 shown]
	ds_write2_b64 v143, v[76:77], v[160:161] offset1:1
	ds_write2_b64 v143, v[162:163], v[164:165] offset0:2 offset1:3
	ds_write2_b64 v143, v[84:85], v[86:87] offset0:4 offset1:5
	;; [unrolled: 1-line block ×7, first 2 shown]
	ds_write_b64 v143, v[135:136] offset:128
	v_add_nc_u32_e32 v64, 0x400, v139
	v_add_nc_u32_e32 v72, 0x1400, v139
	s_waitcnt lgkmcnt(0)
	s_barrier
	buffer_gl0_inv
	ds_read2_b64 v[68:71], v139 offset1:85
	ds_read2_b64 v[64:67], v64 offset0:42 offset1:161
	ds_read2_b64 v[88:91], v150 offset0:66 offset1:151
	;; [unrolled: 1-line block ×6, first 2 shown]
	ds_read_b64 v[137:138], v139 offset:10608
	s_and_saveexec_b32 s0, vcc_lo
	s_cbranch_execz .LBB0_7
; %bb.6:
	ds_read_b64 v[133:134], v139 offset:2040
	ds_read_b64 v[135:136], v139 offset:4352
	;; [unrolled: 1-line block ×5, first 2 shown]
.LBB0_7:
	s_or_b32 exec_lo, exec_lo, s0
	s_waitcnt lgkmcnt(6)
	v_mul_f32_e32 v143, v29, v67
	v_mul_f32_e32 v29, v29, v66
	s_waitcnt lgkmcnt(5)
	v_mul_f32_e32 v147, v31, v89
	v_mul_f32_e32 v31, v31, v88
	s_waitcnt lgkmcnt(4)
	v_mul_f32_e32 v148, v25, v79
	v_fmac_f32_e32 v143, v28, v66
	v_fma_f32 v28, v28, v67, -v29
	v_mul_f32_e32 v25, v25, v78
	s_waitcnt lgkmcnt(1)
	v_mul_f32_e32 v67, v17, v73
	v_mul_f32_e32 v17, v17, v72
	v_fma_f32 v29, v30, v89, -v31
	v_fmac_f32_e32 v148, v24, v78
	v_mul_f32_e32 v31, v21, v81
	v_mul_f32_e32 v21, v21, v80
	v_fma_f32 v24, v24, v79, -v25
	v_fmac_f32_e32 v67, v16, v72
	v_fma_f32 v72, v16, v73, -v17
	v_mul_f32_e32 v73, v13, v83
	v_mul_f32_e32 v13, v13, v82
	;; [unrolled: 1-line block ×4, first 2 shown]
	v_fmac_f32_e32 v147, v30, v88
	v_mul_f32_e32 v30, v27, v85
	v_mul_f32_e32 v27, v27, v84
	v_fma_f32 v66, v20, v81, -v21
	v_fma_f32 v81, v12, v83, -v13
	v_fmac_f32_e32 v79, v14, v76
	v_fma_f32 v76, v14, v77, -v15
	v_mul_f32_e32 v77, v9, v75
	v_mul_f32_e32 v13, v9, v74
	v_add_f32_e32 v14, v68, v143
	v_fmac_f32_e32 v30, v26, v84
	v_fma_f32 v25, v26, v85, -v27
	v_fmac_f32_e32 v31, v20, v80
	v_mul_f32_e32 v27, v23, v91
	v_mul_f32_e32 v20, v23, v90
	;; [unrolled: 1-line block ×4, first 2 shown]
	v_fmac_f32_e32 v73, v12, v82
	v_add_f32_e32 v12, v147, v148
	v_fmac_f32_e32 v77, v8, v74
	v_fma_f32 v8, v8, v75, -v13
	v_add_f32_e32 v13, v14, v147
	v_fmac_f32_e32 v23, v18, v86
	v_fma_f32 v80, v18, v87, -v16
	s_waitcnt lgkmcnt(0)
	v_mul_f32_e32 v82, v11, v138
	v_fma_f32 v9, -0.5, v12, v68
	v_sub_f32_e32 v15, v28, v25
	v_sub_f32_e32 v14, v143, v147
	;; [unrolled: 1-line block ×3, first 2 shown]
	v_add_f32_e32 v18, v143, v30
	v_mul_f32_e32 v11, v11, v137
	v_add_f32_e32 v13, v13, v148
	v_fma_f32 v78, v22, v91, -v20
	v_fmac_f32_e32 v82, v10, v137
	v_fmamk_f32 v12, v15, 0xbf737871, v9
	v_sub_f32_e32 v17, v29, v24
	v_add_f32_e32 v19, v14, v16
	v_fma_f32 v14, -0.5, v18, v68
	v_fma_f32 v11, v10, v138, -v11
	v_add_f32_e32 v16, v13, v30
	v_fmac_f32_e32 v9, 0x3f737871, v15
	v_sub_f32_e32 v10, v147, v143
	v_sub_f32_e32 v13, v148, v30
	v_add_f32_e32 v20, v69, v28
	v_fmac_f32_e32 v27, v22, v90
	v_fmac_f32_e32 v12, 0xbf167918, v17
	v_fmamk_f32 v18, v17, 0x3f737871, v14
	v_fmac_f32_e32 v9, 0x3f167918, v17
	v_add_f32_e32 v21, v29, v24
	v_add_f32_e32 v22, v10, v13
	v_fmac_f32_e32 v14, 0xbf737871, v17
	v_add_f32_e32 v13, v20, v29
	v_fmac_f32_e32 v12, 0x3e9e377a, v19
	v_fmac_f32_e32 v18, 0xbf167918, v15
	v_fma_f32 v10, -0.5, v21, v69
	v_sub_f32_e32 v21, v143, v30
	v_fmac_f32_e32 v9, 0x3e9e377a, v19
	v_fmac_f32_e32 v14, 0x3f167918, v15
	v_add_f32_e32 v17, v13, v24
	v_add_f32_e32 v15, v28, v25
	v_sub_f32_e32 v19, v28, v29
	v_sub_f32_e32 v20, v25, v24
	v_fmac_f32_e32 v18, 0x3e9e377a, v22
	v_fmamk_f32 v13, v21, 0x3f737871, v10
	v_sub_f32_e32 v26, v147, v148
	v_fmac_f32_e32 v14, 0x3e9e377a, v22
	v_fma_f32 v15, -0.5, v15, v69
	v_add_f32_e32 v17, v17, v25
	v_add_f32_e32 v22, v19, v20
	v_fmac_f32_e32 v10, 0xbf737871, v21
	v_sub_f32_e32 v20, v29, v28
	v_sub_f32_e32 v24, v24, v25
	v_add_f32_e32 v25, v27, v67
	v_add_f32_e32 v28, v70, v31
	v_fmac_f32_e32 v13, 0x3f167918, v26
	v_fmamk_f32 v19, v26, 0xbf737871, v15
	v_fmac_f32_e32 v10, 0xbf167918, v26
	v_add_f32_e32 v24, v20, v24
	v_fma_f32 v20, -0.5, v25, v70
	v_sub_f32_e32 v25, v66, v80
	v_fmac_f32_e32 v15, 0x3f737871, v26
	v_add_f32_e32 v26, v28, v27
	v_add_f32_e32 v68, v31, v23
	v_fmac_f32_e32 v13, 0x3e9e377a, v22
	v_fmac_f32_e32 v19, 0x3f167918, v21
	;; [unrolled: 1-line block ×3, first 2 shown]
	v_fmamk_f32 v22, v25, 0xbf737871, v20
	v_sub_f32_e32 v28, v78, v72
	v_sub_f32_e32 v29, v31, v27
	;; [unrolled: 1-line block ×3, first 2 shown]
	v_fmac_f32_e32 v15, 0xbf167918, v21
	v_add_f32_e32 v21, v26, v67
	v_fma_f32 v70, -0.5, v68, v70
	v_fmac_f32_e32 v20, 0x3f737871, v25
	v_add_f32_e32 v68, v71, v66
	v_fmac_f32_e32 v19, 0x3e9e377a, v24
	v_fmac_f32_e32 v22, 0xbf167918, v28
	v_add_f32_e32 v29, v29, v30
	v_fmac_f32_e32 v15, 0x3e9e377a, v24
	v_add_f32_e32 v24, v21, v23
	v_fmamk_f32 v26, v28, 0x3f737871, v70
	v_sub_f32_e32 v21, v27, v31
	v_sub_f32_e32 v30, v67, v23
	v_fmac_f32_e32 v20, 0x3f167918, v28
	v_add_f32_e32 v69, v78, v72
	v_fmac_f32_e32 v70, 0xbf737871, v28
	v_add_f32_e32 v28, v68, v78
	v_fmac_f32_e32 v22, 0x3e9e377a, v29
	v_fmac_f32_e32 v26, 0xbf167918, v25
	v_add_f32_e32 v30, v21, v30
	v_fma_f32 v21, -0.5, v69, v71
	v_sub_f32_e32 v31, v31, v23
	v_fmac_f32_e32 v20, 0x3e9e377a, v29
	v_fmac_f32_e32 v70, 0x3f167918, v25
	v_add_f32_e32 v25, v28, v72
	v_add_f32_e32 v28, v66, v80
	v_sub_f32_e32 v29, v27, v67
	v_sub_f32_e32 v27, v66, v78
	;; [unrolled: 1-line block ×3, first 2 shown]
	v_fmac_f32_e32 v26, 0x3e9e377a, v30
	v_fmamk_f32 v23, v31, 0x3f737871, v21
	v_fmac_f32_e32 v70, 0x3e9e377a, v30
	v_fmac_f32_e32 v71, -0.5, v28
	v_add_f32_e32 v30, v27, v67
	v_fmac_f32_e32 v21, 0xbf737871, v31
	v_sub_f32_e32 v28, v78, v66
	v_sub_f32_e32 v66, v72, v80
	v_add_f32_e32 v67, v79, v77
	v_fmac_f32_e32 v23, 0x3f167918, v29
	v_fmamk_f32 v27, v29, 0xbf737871, v71
	v_fmac_f32_e32 v21, 0xbf167918, v29
	v_add_f32_e32 v66, v28, v66
	v_fmac_f32_e32 v71, 0x3f737871, v29
	v_add_f32_e32 v29, v64, v73
	v_fma_f32 v28, -0.5, v67, v64
	v_sub_f32_e32 v67, v81, v11
	v_fmac_f32_e32 v23, 0x3e9e377a, v30
	v_fmac_f32_e32 v27, 0x3f167918, v31
	;; [unrolled: 1-line block ×4, first 2 shown]
	v_add_f32_e32 v29, v29, v79
	v_fmamk_f32 v30, v67, 0xbf737871, v28
	v_sub_f32_e32 v31, v76, v8
	v_sub_f32_e32 v68, v73, v79
	;; [unrolled: 1-line block ×3, first 2 shown]
	v_fmac_f32_e32 v28, 0x3f737871, v67
	v_add_f32_e32 v72, v73, v82
	v_add_f32_e32 v29, v29, v77
	v_fmac_f32_e32 v30, 0xbf167918, v31
	v_add_f32_e32 v68, v68, v69
	v_fmac_f32_e32 v28, 0x3f167918, v31
	v_fma_f32 v64, -0.5, v72, v64
	v_sub_f32_e32 v69, v79, v73
	v_sub_f32_e32 v72, v77, v82
	v_fmac_f32_e32 v27, 0x3e9e377a, v66
	v_fmac_f32_e32 v71, 0x3e9e377a, v66
	v_add_f32_e32 v66, v29, v82
	v_fmac_f32_e32 v30, 0x3e9e377a, v68
	v_fmac_f32_e32 v28, 0x3e9e377a, v68
	v_fmamk_f32 v68, v31, 0x3f737871, v64
	v_add_f32_e32 v29, v76, v8
	v_fmac_f32_e32 v64, 0xbf737871, v31
	v_add_f32_e32 v31, v65, v81
	v_add_f32_e32 v69, v69, v72
	;; [unrolled: 1-line block ×3, first 2 shown]
	v_fma_f32 v29, -0.5, v29, v65
	v_sub_f32_e32 v73, v73, v82
	v_fmac_f32_e32 v68, 0xbf167918, v67
	v_fmac_f32_e32 v64, 0x3f167918, v67
	v_add_f32_e32 v67, v31, v76
	v_sub_f32_e32 v74, v79, v77
	v_fmac_f32_e32 v65, -0.5, v72
	v_fmamk_f32 v31, v73, 0x3f737871, v29
	v_fmac_f32_e32 v68, 0x3e9e377a, v69
	v_fmac_f32_e32 v64, 0x3e9e377a, v69
	v_add_f32_e32 v67, v67, v8
	v_sub_f32_e32 v72, v81, v76
	v_sub_f32_e32 v75, v11, v8
	v_fmac_f32_e32 v29, 0xbf737871, v73
	v_fmamk_f32 v69, v74, 0xbf737871, v65
	v_sub_f32_e32 v76, v76, v81
	v_sub_f32_e32 v8, v8, v11
	v_fmac_f32_e32 v65, 0x3f737871, v74
	v_fmac_f32_e32 v31, 0x3f167918, v74
	v_add_f32_e32 v72, v72, v75
	v_fmac_f32_e32 v29, 0xbf167918, v74
	v_fmac_f32_e32 v69, 0x3f167918, v73
	v_add_f32_e32 v8, v76, v8
	v_fmac_f32_e32 v65, 0xbf167918, v73
	v_add_f32_e32 v25, v25, v80
	v_add_f32_e32 v67, v67, v11
	v_fmac_f32_e32 v31, 0x3e9e377a, v72
	v_fmac_f32_e32 v29, 0x3e9e377a, v72
	;; [unrolled: 1-line block ×4, first 2 shown]
	s_barrier
	buffer_gl0_inv
	ds_write2_b64 v146, v[16:17], v[12:13] offset1:17
	ds_write2_b64 v146, v[18:19], v[14:15] offset0:34 offset1:51
	ds_write_b64 v146, v[9:10] offset:544
	ds_write2_b64 v145, v[24:25], v[22:23] offset1:17
	ds_write2_b64 v145, v[26:27], v[70:71] offset0:34 offset1:51
	ds_write_b64 v145, v[20:21] offset:544
	;; [unrolled: 3-line block ×3, first 2 shown]
	s_and_saveexec_b32 s0, vcc_lo
	s_cbranch_execz .LBB0_9
; %bb.8:
	v_mul_f32_e32 v8, v1, v135
	v_mul_f32_e32 v9, v7, v129
	;; [unrolled: 1-line block ×5, first 2 shown]
	v_fma_f32 v8, v0, v136, -v8
	v_fma_f32 v9, v6, v130, -v9
	v_mul_f32_e32 v3, v5, v127
	v_fma_f32 v10, v2, v132, -v10
	v_fmac_f32_e32 v11, v2, v131
	v_fmac_f32_e32 v12, v4, v127
	v_add_f32_e32 v2, v8, v9
	v_mul_f32_e32 v13, v1, v136
	v_mul_f32_e32 v14, v7, v130
	v_fma_f32 v4, v4, v128, -v3
	v_sub_f32_e32 v15, v11, v12
	v_fma_f32 v1, -0.5, v2, v134
	v_fmac_f32_e32 v13, v0, v135
	v_fmac_f32_e32 v14, v6, v129
	v_sub_f32_e32 v0, v10, v8
	v_sub_f32_e32 v2, v4, v9
	v_add_f32_e32 v5, v10, v4
	v_fmamk_f32 v3, v15, 0x3f737871, v1
	v_sub_f32_e32 v6, v13, v14
	v_fmac_f32_e32 v1, 0xbf737871, v15
	v_add_f32_e32 v0, v0, v2
	v_fma_f32 v5, -0.5, v5, v134
	v_sub_f32_e32 v2, v8, v10
	v_sub_f32_e32 v16, v9, v4
	v_add_f32_e32 v17, v134, v8
	v_fmac_f32_e32 v3, 0xbf167918, v6
	v_fmamk_f32 v7, v6, 0xbf737871, v5
	v_fmac_f32_e32 v1, 0x3f167918, v6
	v_add_f32_e32 v16, v2, v16
	v_fmac_f32_e32 v5, 0x3f737871, v6
	v_add_f32_e32 v2, v17, v10
	v_add_f32_e32 v6, v13, v14
	v_fmac_f32_e32 v3, 0x3e9e377a, v0
	v_fmac_f32_e32 v7, 0xbf167918, v15
	;; [unrolled: 1-line block ×4, first 2 shown]
	v_add_f32_e32 v15, v2, v4
	v_fma_f32 v0, -0.5, v6, v133
	v_sub_f32_e32 v10, v10, v4
	v_sub_f32_e32 v4, v11, v13
	;; [unrolled: 1-line block ×3, first 2 shown]
	v_add_f32_e32 v17, v11, v12
	v_fmac_f32_e32 v7, 0x3e9e377a, v16
	v_sub_f32_e32 v8, v8, v9
	v_fmac_f32_e32 v5, 0x3e9e377a, v16
	v_add_f32_e32 v9, v15, v9
	v_add_f32_e32 v15, v4, v6
	v_fma_f32 v4, -0.5, v17, v133
	v_add_f32_e32 v16, v133, v13
	v_sub_f32_e32 v13, v13, v11
	v_sub_f32_e32 v17, v14, v12
	v_fmamk_f32 v2, v10, 0xbf737871, v0
	v_fmamk_f32 v6, v8, 0x3f737871, v4
	v_fmac_f32_e32 v4, 0xbf737871, v8
	v_add_f32_e32 v11, v16, v11
	v_fmac_f32_e32 v0, 0x3f737871, v10
	v_add_f32_e32 v13, v13, v17
	v_mov_b32_e32 v16, 3
	v_fmac_f32_e32 v4, 0xbf167918, v10
	v_add_f32_e32 v11, v11, v12
	v_mad_u16 v12, 0x55, v141, v142
	v_fmac_f32_e32 v2, 0x3f167918, v8
	v_fmac_f32_e32 v0, 0xbf167918, v8
	;; [unrolled: 1-line block ×4, first 2 shown]
	v_add_f32_e32 v8, v11, v14
	v_lshlrev_b32_sdwa v10, v16, v12 dst_sel:DWORD dst_unused:UNUSED_PAD src0_sel:DWORD src1_sel:WORD_0
	v_fmac_f32_e32 v2, 0x3e9e377a, v15
	v_fmac_f32_e32 v0, 0x3e9e377a, v15
	;; [unrolled: 1-line block ×3, first 2 shown]
	ds_write2_b64 v10, v[8:9], v[4:5] offset1:17
	ds_write2_b64 v10, v[0:1], v[2:3] offset0:34 offset1:51
	ds_write_b64 v10, v[6:7] offset:544
.LBB0_9:
	s_or_b32 exec_lo, exec_lo, s0
	s_waitcnt lgkmcnt(0)
	s_barrier
	buffer_gl0_inv
	ds_read2_b64 v[26:29], v139 offset1:85
	ds_read2_b64 v[8:11], v139 offset0:170 offset1:255
	v_add_nc_u32_e32 v7, 0x800, v139
	v_add_nc_u32_e32 v6, 0xc00, v139
	;; [unrolled: 1-line block ×5, first 2 shown]
	ds_read2_b64 v[12:15], v7 offset0:84 offset1:169
	v_add_nc_u32_e32 v2, 0x2000, v139
	ds_read_b64 v[0:1], v139 offset:10880
	ds_read2_b64 v[64:67], v6 offset0:126 offset1:211
	ds_read2_b64 v[68:71], v5 offset0:168 offset1:253
	ds_read2_b64 v[72:75], v4 offset0:82 offset1:167
	ds_read2_b64 v[76:79], v3 offset0:124 offset1:209
	ds_read2_b64 v[80:83], v2 offset0:166 offset1:251
	s_mov_b32 s0, 0xda71079e
	s_mov_b32 s1, 0x3f46ad43
	s_mul_i32 s2, s9, 0x2a8
	s_mul_hi_u32 s3, s8, 0x2a8
	s_add_i32 s2, s3, s2
	s_mul_i32 s3, s8, 0x2a8
	s_waitcnt lgkmcnt(8)
	v_mul_f32_e32 v30, v57, v29
	v_mul_f32_e32 v16, v57, v28
	s_waitcnt lgkmcnt(7)
	v_mul_f32_e32 v31, v59, v9
	v_mul_f32_e32 v17, v59, v8
	;; [unrolled: 1-line block ×4, first 2 shown]
	v_fmac_f32_e32 v30, v56, v28
	v_fma_f32 v28, v56, v29, -v16
	v_fmac_f32_e32 v31, v58, v8
	v_fma_f32 v29, v58, v9, -v17
	;; [unrolled: 2-line block ×3, first 2 shown]
	v_add_f32_e32 v10, v26, v30
	v_add_f32_e32 v11, v27, v28
	s_waitcnt lgkmcnt(6)
	v_mul_f32_e32 v24, v47, v13
	v_mul_f32_e32 v8, v47, v12
	;; [unrolled: 1-line block ×3, first 2 shown]
	v_add_f32_e32 v10, v10, v31
	v_add_f32_e32 v11, v11, v29
	v_mul_f32_e32 v20, v37, v15
	v_fmac_f32_e32 v24, v46, v12
	v_fma_f32 v25, v46, v13, -v8
	v_fma_f32 v21, v36, v15, -v9
	v_add_f32_e32 v15, v10, v57
	v_add_f32_e32 v11, v11, v44
	s_waitcnt lgkmcnt(4)
	v_mul_f32_e32 v16, v39, v65
	v_fmac_f32_e32 v20, v36, v14
	v_mul_f32_e32 v8, v39, v64
	v_add_f32_e32 v15, v15, v24
	v_add_f32_e32 v19, v11, v25
	v_fmac_f32_e32 v16, v38, v64
	v_mul_f32_e32 v12, v33, v67
	v_mul_f32_e32 v9, v33, v66
	v_fma_f32 v17, v38, v65, -v8
	v_add_f32_e32 v23, v15, v20
	v_add_f32_e32 v19, v19, v21
	v_fmac_f32_e32 v12, v32, v66
	v_fma_f32 v13, v32, v67, -v9
	s_waitcnt lgkmcnt(3)
	v_mul_f32_e32 v8, v35, v69
	v_mul_f32_e32 v14, v35, v68
	v_add_f32_e32 v23, v23, v16
	v_add_f32_e32 v19, v19, v17
	v_mul_f32_e32 v9, v61, v71
	v_fmac_f32_e32 v8, v34, v68
	v_fma_f32 v10, v34, v69, -v14
	v_mul_f32_e32 v18, v61, v70
	s_waitcnt lgkmcnt(2)
	v_mul_f32_e32 v32, v53, v74
	v_add_f32_e32 v23, v23, v12
	v_add_f32_e32 v33, v19, v13
	v_fmac_f32_e32 v9, v60, v70
	v_mul_f32_e32 v14, v63, v73
	v_mul_f32_e32 v22, v63, v72
	v_fma_f32 v11, v60, v71, -v18
	v_fma_f32 v19, v52, v75, -v32
	s_waitcnt lgkmcnt(1)
	v_mul_f32_e32 v32, v55, v76
	v_add_f32_e32 v34, v23, v8
	v_add_f32_e32 v33, v33, v10
	v_fmac_f32_e32 v14, v62, v72
	v_fma_f32 v15, v62, v73, -v22
	v_mul_f32_e32 v18, v53, v75
	v_fma_f32 v23, v54, v77, -v32
	v_add_f32_e32 v32, v34, v9
	v_add_f32_e32 v33, v33, v11
	v_mul_f32_e32 v22, v55, v77
	v_fmac_f32_e32 v18, v52, v74
	v_mul_f32_e32 v35, v49, v79
	v_add_f32_e32 v32, v32, v14
	v_add_f32_e32 v33, v33, v15
	v_fmac_f32_e32 v22, v54, v76
	v_mul_f32_e32 v36, v49, v78
	v_fmac_f32_e32 v35, v48, v78
	v_add_f32_e32 v32, v32, v18
	v_add_f32_e32 v33, v33, v19
	s_waitcnt lgkmcnt(0)
	v_mul_f32_e32 v37, v51, v80
	v_fma_f32 v34, v48, v79, -v36
	v_mul_f32_e32 v36, v51, v81
	v_add_f32_e32 v32, v32, v22
	v_add_f32_e32 v33, v33, v23
	v_mul_f32_e32 v38, v41, v83
	v_fma_f32 v37, v50, v81, -v37
	v_fmac_f32_e32 v36, v50, v80
	v_mul_f32_e32 v39, v43, v0
	v_mul_f32_e32 v43, v43, v1
	;; [unrolled: 1-line block ×3, first 2 shown]
	v_add_f32_e32 v32, v32, v35
	v_add_f32_e32 v33, v33, v34
	v_fma_f32 v1, v42, v1, -v39
	v_fmac_f32_e32 v43, v42, v0
	v_fma_f32 v39, v40, v83, -v41
	v_add_f32_e32 v0, v32, v36
	v_add_f32_e32 v32, v33, v37
	v_fmac_f32_e32 v38, v40, v82
	v_sub_f32_e32 v40, v28, v1
	v_add_f32_e32 v28, v28, v1
	v_add_f32_e32 v33, v30, v43
	;; [unrolled: 1-line block ×4, first 2 shown]
	v_mul_f32_e32 v41, 0xbeb8f4ab, v40
	v_sub_f32_e32 v30, v30, v43
	v_mul_f32_e32 v42, 0x3f6eb680, v28
	v_add_f32_e32 v1, v32, v1
	v_mul_f32_e32 v32, 0xbf2c7751, v40
	v_mul_f32_e32 v47, 0x3f3d2fb0, v28
	v_mul_f32_e32 v48, 0xbf65296c, v40
	v_mul_f32_e32 v50, 0x3ee437d1, v28
	v_mul_f32_e32 v53, 0xbf7ee86f, v40
	v_mul_f32_e32 v54, 0x3dbcf732, v28
	v_mul_f32_e32 v56, 0xbf763a35, v40
	v_mul_f32_e32 v60, 0xbe8c1d8e, v28
	v_mul_f32_e32 v61, 0xbf4c4adb, v40
	v_mul_f32_e32 v63, 0xbf1a4643, v28
	v_mul_f32_e32 v66, 0xbf06c442, v40
	v_mul_f32_e32 v67, 0xbf59a7d5, v28
	v_mul_f32_e32 v40, 0xbe3c28d5, v40
	v_mul_f32_e32 v28, 0xbf7ba420, v28
	v_sub_f32_e32 v71, v29, v39
	v_add_f32_e32 v29, v29, v39
	v_fmamk_f32 v45, v33, 0x3f6eb680, v41
	v_add_f32_e32 v0, v0, v43
	v_fmamk_f32 v43, v30, 0x3eb8f4ab, v42
	v_fma_f32 v41, 0x3f6eb680, v33, -v41
	v_fmac_f32_e32 v42, 0xbeb8f4ab, v30
	v_fmamk_f32 v46, v33, 0x3f3d2fb0, v32
	v_fmamk_f32 v49, v30, 0x3f2c7751, v47
	v_fma_f32 v32, 0x3f3d2fb0, v33, -v32
	v_fmac_f32_e32 v47, 0xbf2c7751, v30
	v_fmamk_f32 v51, v33, 0x3ee437d1, v48
	;; [unrolled: 4-line block ×7, first 2 shown]
	v_fmamk_f32 v72, v30, 0x3e3c28d5, v28
	v_fma_f32 v33, 0xbf7ba420, v33, -v40
	v_add_f32_e32 v39, v31, v38
	v_mul_f32_e32 v40, 0xbf2c7751, v71
	v_fmac_f32_e32 v28, 0xbe3c28d5, v30
	v_sub_f32_e32 v30, v31, v38
	v_mul_f32_e32 v31, 0x3f3d2fb0, v29
	v_add_f32_e32 v45, v26, v45
	v_add_f32_e32 v43, v27, v43
	;; [unrolled: 1-line block ×30, first 2 shown]
	v_fmamk_f32 v72, v39, 0x3f3d2fb0, v40
	v_add_f32_e32 v26, v26, v33
	v_add_f32_e32 v27, v27, v28
	v_fmamk_f32 v28, v30, 0x3f2c7751, v31
	v_mul_f32_e32 v33, 0xbf7ee86f, v71
	v_fma_f32 v40, 0x3f3d2fb0, v39, -v40
	v_add_f32_e32 v45, v72, v45
	v_fmac_f32_e32 v31, 0xbf2c7751, v30
	v_add_f32_e32 v28, v28, v43
	v_fmamk_f32 v43, v39, 0x3dbcf732, v33
	v_mul_f32_e32 v72, 0x3dbcf732, v29
	v_add_f32_e32 v40, v40, v41
	v_mul_f32_e32 v41, 0xbf4c4adb, v71
	v_add_f32_e32 v31, v31, v42
	v_add_f32_e32 v42, v43, v46
	v_fmamk_f32 v43, v30, 0x3f7ee86f, v72
	v_fma_f32 v33, 0x3dbcf732, v39, -v33
	v_fmac_f32_e32 v72, 0xbf7ee86f, v30
	v_fmamk_f32 v46, v39, 0xbf1a4643, v41
	v_mul_f32_e32 v73, 0xbf1a4643, v29
	v_add_f32_e32 v43, v43, v49
	v_add_f32_e32 v32, v33, v32
	;; [unrolled: 1-line block ×4, first 2 shown]
	v_fmamk_f32 v47, v30, 0x3f4c4adb, v73
	v_mul_f32_e32 v49, 0xbe3c28d5, v71
	v_fma_f32 v41, 0xbf1a4643, v39, -v41
	v_fmac_f32_e32 v73, 0xbf4c4adb, v30
	v_mul_f32_e32 v51, 0xbf7ba420, v29
	v_add_f32_e32 v47, v47, v52
	v_fmamk_f32 v52, v39, 0xbf7ba420, v49
	v_add_f32_e32 v41, v41, v48
	v_add_f32_e32 v48, v73, v50
	v_fmamk_f32 v50, v30, 0x3e3c28d5, v51
	v_mul_f32_e32 v72, 0x3f06c442, v71
	v_add_f32_e32 v52, v52, v55
	v_fma_f32 v49, 0xbf7ba420, v39, -v49
	v_fmac_f32_e32 v51, 0xbe3c28d5, v30
	v_add_f32_e32 v50, v50, v58
	v_fmamk_f32 v55, v39, 0xbf59a7d5, v72
	v_mul_f32_e32 v58, 0xbf59a7d5, v29
	v_add_f32_e32 v49, v49, v53
	v_add_f32_e32 v51, v51, v54
	v_mul_f32_e32 v53, 0x3f763a35, v71
	v_add_f32_e32 v54, v55, v59
	v_fmamk_f32 v55, v30, 0xbf06c442, v58
	v_fmac_f32_e32 v58, 0x3f06c442, v30
	v_mul_f32_e32 v73, 0xbe8c1d8e, v29
	v_fma_f32 v59, 0xbf59a7d5, v39, -v72
	v_fmamk_f32 v72, v39, 0xbe8c1d8e, v53
	v_add_f32_e32 v55, v55, v62
	v_add_f32_e32 v58, v58, v60
	v_fmamk_f32 v60, v30, 0xbf763a35, v73
	v_mul_f32_e32 v62, 0x3f65296c, v71
	v_add_f32_e32 v56, v59, v56
	v_add_f32_e32 v59, v72, v64
	v_fma_f32 v53, 0xbe8c1d8e, v39, -v53
	v_mul_f32_e32 v64, 0x3ee437d1, v29
	v_add_f32_e32 v60, v60, v65
	v_fmamk_f32 v65, v39, 0x3ee437d1, v62
	v_mul_f32_e32 v71, 0x3eb8f4ab, v71
	v_fma_f32 v62, 0x3ee437d1, v39, -v62
	v_add_f32_e32 v53, v53, v61
	v_fmamk_f32 v61, v30, 0xbf65296c, v64
	v_add_f32_e32 v65, v65, v68
	v_fmac_f32_e32 v64, 0x3f65296c, v30
	v_fmamk_f32 v68, v39, 0x3f6eb680, v71
	v_add_f32_e32 v62, v62, v66
	v_sub_f32_e32 v66, v44, v37
	v_add_f32_e32 v61, v61, v69
	v_mul_f32_e32 v29, 0x3f6eb680, v29
	v_add_f32_e32 v64, v64, v67
	v_add_f32_e32 v67, v68, v70
	;; [unrolled: 1-line block ×3, first 2 shown]
	v_mul_f32_e32 v70, 0xbf65296c, v66
	v_add_f32_e32 v37, v44, v37
	v_fmac_f32_e32 v73, 0x3f763a35, v30
	v_fmamk_f32 v68, v30, 0xbeb8f4ab, v29
	v_fma_f32 v39, 0x3f6eb680, v39, -v71
	v_fmac_f32_e32 v29, 0x3eb8f4ab, v30
	v_sub_f32_e32 v30, v57, v36
	v_fmamk_f32 v36, v69, 0x3ee437d1, v70
	v_mul_f32_e32 v44, 0x3ee437d1, v37
	v_add_f32_e32 v26, v39, v26
	v_add_f32_e32 v27, v29, v27
	v_mul_f32_e32 v39, 0xbf4c4adb, v66
	v_add_f32_e32 v29, v36, v45
	v_fmamk_f32 v36, v30, 0x3f65296c, v44
	v_fma_f32 v45, 0x3ee437d1, v69, -v70
	v_fmac_f32_e32 v44, 0xbf65296c, v30
	v_mul_f32_e32 v57, 0xbf1a4643, v37
	v_add_f32_e32 v38, v68, v38
	v_add_f32_e32 v28, v36, v28
	v_fmamk_f32 v36, v69, 0xbf1a4643, v39
	v_add_f32_e32 v40, v45, v40
	v_add_f32_e32 v31, v44, v31
	v_fmamk_f32 v44, v30, 0x3f4c4adb, v57
	v_mul_f32_e32 v45, 0x3e3c28d5, v66
	v_add_f32_e32 v36, v36, v42
	v_fma_f32 v39, 0xbf1a4643, v69, -v39
	v_fmac_f32_e32 v57, 0xbf4c4adb, v30
	v_add_f32_e32 v42, v44, v43
	v_fmamk_f32 v43, v69, 0xbf7ba420, v45
	v_mul_f32_e32 v44, 0xbf7ba420, v37
	v_add_f32_e32 v32, v39, v32
	v_mul_f32_e32 v39, 0x3f763a35, v66
	v_mul_f32_e32 v68, 0xbe8c1d8e, v37
	v_add_f32_e32 v43, v43, v46
	v_fmamk_f32 v46, v30, 0xbe3c28d5, v44
	v_fmac_f32_e32 v44, 0x3e3c28d5, v30
	v_add_f32_e32 v33, v57, v33
	v_fma_f32 v45, 0xbf7ba420, v69, -v45
	v_fmamk_f32 v57, v69, 0xbe8c1d8e, v39
	v_add_f32_e32 v46, v46, v47
	v_add_f32_e32 v44, v44, v48
	v_fmamk_f32 v47, v30, 0xbf763a35, v68
	v_mul_f32_e32 v48, 0x3f2c7751, v66
	v_add_f32_e32 v41, v45, v41
	v_add_f32_e32 v45, v57, v52
	v_fma_f32 v39, 0xbe8c1d8e, v69, -v39
	v_fmac_f32_e32 v68, 0x3f763a35, v30
	v_mul_f32_e32 v52, 0x3f3d2fb0, v37
	v_add_f32_e32 v47, v47, v50
	v_fmamk_f32 v50, v69, 0x3f3d2fb0, v48
	v_mul_f32_e32 v57, 0xbeb8f4ab, v66
	v_fma_f32 v48, 0x3f3d2fb0, v69, -v48
	v_add_f32_e32 v39, v39, v49
	v_add_f32_e32 v49, v68, v51
	v_fmamk_f32 v51, v30, 0xbf2c7751, v52
	v_add_f32_e32 v50, v50, v54
	v_fmamk_f32 v54, v69, 0x3f6eb680, v57
	v_add_f32_e32 v48, v48, v56
	v_mul_f32_e32 v56, 0xbf7ee86f, v66
	v_fmac_f32_e32 v52, 0x3f2c7751, v30
	v_add_f32_e32 v51, v51, v55
	v_mul_f32_e32 v55, 0x3f6eb680, v37
	v_add_f32_e32 v54, v54, v59
	v_fma_f32 v57, 0x3f6eb680, v69, -v57
	v_fmamk_f32 v59, v69, 0x3dbcf732, v56
	v_mul_f32_e32 v68, 0x3dbcf732, v37
	v_add_f32_e32 v63, v73, v63
	v_add_f32_e32 v52, v52, v58
	v_fmamk_f32 v58, v30, 0x3eb8f4ab, v55
	v_fmac_f32_e32 v55, 0xbeb8f4ab, v30
	v_add_f32_e32 v53, v57, v53
	v_add_f32_e32 v57, v59, v65
	v_fmamk_f32 v59, v30, 0x3f7ee86f, v68
	v_mul_f32_e32 v37, 0xbf59a7d5, v37
	v_fma_f32 v56, 0x3dbcf732, v69, -v56
	v_fmac_f32_e32 v68, 0xbf7ee86f, v30
	v_add_f32_e32 v55, v55, v63
	v_add_f32_e32 v58, v58, v60
	v_fmamk_f32 v63, v30, 0x3f06c442, v37
	v_add_f32_e32 v56, v56, v62
	v_add_f32_e32 v62, v68, v64
	v_sub_f32_e32 v64, v25, v34
	v_mul_f32_e32 v60, 0xbf06c442, v66
	v_add_f32_e32 v38, v63, v38
	v_add_f32_e32 v63, v24, v35
	;; [unrolled: 1-line block ×3, first 2 shown]
	v_mul_f32_e32 v34, 0xbf7ee86f, v64
	v_fmac_f32_e32 v37, 0xbf06c442, v30
	v_add_f32_e32 v59, v59, v61
	v_fmamk_f32 v61, v69, 0xbf59a7d5, v60
	v_fma_f32 v60, 0xbf59a7d5, v69, -v60
	v_sub_f32_e32 v24, v24, v35
	v_mul_f32_e32 v30, 0x3dbcf732, v25
	v_fmamk_f32 v35, v63, 0x3dbcf732, v34
	v_add_f32_e32 v27, v37, v27
	v_mul_f32_e32 v37, 0xbe3c28d5, v64
	v_add_f32_e32 v26, v60, v26
	v_fmamk_f32 v60, v24, 0x3f7ee86f, v30
	v_add_f32_e32 v29, v35, v29
	v_fma_f32 v34, 0x3dbcf732, v63, -v34
	v_fmac_f32_e32 v30, 0xbf7ee86f, v24
	v_fmamk_f32 v35, v63, 0xbf7ba420, v37
	v_add_f32_e32 v28, v60, v28
	v_mul_f32_e32 v60, 0xbf7ba420, v25
	v_add_f32_e32 v34, v34, v40
	v_add_f32_e32 v30, v30, v31
	;; [unrolled: 1-line block ×3, first 2 shown]
	v_mul_f32_e32 v35, 0x3f763a35, v64
	v_fma_f32 v37, 0xbf7ba420, v63, -v37
	v_mul_f32_e32 v40, 0xbe8c1d8e, v25
	v_fmamk_f32 v36, v24, 0x3e3c28d5, v60
	v_fmac_f32_e32 v60, 0xbe3c28d5, v24
	v_fmamk_f32 v65, v63, 0xbe8c1d8e, v35
	v_add_f32_e32 v32, v37, v32
	v_fmamk_f32 v37, v24, 0xbf763a35, v40
	v_add_f32_e32 v36, v36, v42
	v_fma_f32 v35, 0xbe8c1d8e, v63, -v35
	v_add_f32_e32 v42, v65, v43
	v_mul_f32_e32 v43, 0x3eb8f4ab, v64
	v_fmac_f32_e32 v40, 0x3f763a35, v24
	v_add_f32_e32 v37, v37, v46
	v_mul_f32_e32 v46, 0x3f6eb680, v25
	v_add_f32_e32 v33, v60, v33
	v_fmamk_f32 v60, v63, 0x3f6eb680, v43
	v_add_f32_e32 v35, v35, v41
	v_add_f32_e32 v40, v40, v44
	v_mul_f32_e32 v41, 0xbf65296c, v64
	v_fmamk_f32 v44, v24, 0xbeb8f4ab, v46
	v_add_f32_e32 v45, v60, v45
	v_fma_f32 v43, 0x3f6eb680, v63, -v43
	v_fmac_f32_e32 v46, 0x3eb8f4ab, v24
	v_fmamk_f32 v60, v63, 0x3ee437d1, v41
	v_add_f32_e32 v44, v44, v47
	v_mul_f32_e32 v47, 0x3ee437d1, v25
	v_add_f32_e32 v39, v43, v39
	v_add_f32_e32 v43, v46, v49
	;; [unrolled: 1-line block ×3, first 2 shown]
	v_mul_f32_e32 v49, 0xbf06c442, v64
	v_fmamk_f32 v50, v24, 0x3f65296c, v47
	v_fma_f32 v41, 0x3ee437d1, v63, -v41
	v_fmac_f32_e32 v47, 0xbf65296c, v24
	v_mul_f32_e32 v60, 0xbf59a7d5, v25
	v_fmamk_f32 v65, v63, 0xbf59a7d5, v49
	v_fma_f32 v49, 0xbf59a7d5, v63, -v49
	v_add_f32_e32 v41, v41, v48
	v_add_f32_e32 v47, v47, v52
	v_fmamk_f32 v48, v24, 0x3f06c442, v60
	v_mul_f32_e32 v52, 0x3f4c4adb, v64
	v_fmac_f32_e32 v60, 0xbf06c442, v24
	v_add_f32_e32 v49, v49, v53
	v_add_f32_e32 v61, v61, v67
	;; [unrolled: 1-line block ×3, first 2 shown]
	v_fmamk_f32 v58, v63, 0xbf1a4643, v52
	v_add_f32_e32 v53, v60, v55
	v_mul_f32_e32 v55, 0x3f2c7751, v64
	v_add_f32_e32 v50, v50, v51
	v_add_f32_e32 v51, v65, v54
	v_mul_f32_e32 v54, 0xbf1a4643, v25
	v_add_f32_e32 v57, v58, v57
	v_fma_f32 v52, 0xbf1a4643, v63, -v52
	v_fmamk_f32 v58, v63, 0x3f3d2fb0, v55
	v_mul_f32_e32 v25, 0x3f3d2fb0, v25
	v_fmamk_f32 v60, v24, 0xbf4c4adb, v54
	v_fma_f32 v55, 0x3f3d2fb0, v63, -v55
	v_add_f32_e32 v52, v52, v56
	v_add_f32_e32 v56, v58, v61
	v_sub_f32_e32 v58, v21, v23
	v_add_f32_e32 v21, v21, v23
	v_add_f32_e32 v59, v60, v59
	v_fmamk_f32 v60, v24, 0xbf2c7751, v25
	v_add_f32_e32 v23, v20, v22
	v_mul_f32_e32 v61, 0xbf763a35, v58
	v_fmac_f32_e32 v25, 0x3f2c7751, v24
	v_sub_f32_e32 v20, v20, v22
	v_mul_f32_e32 v22, 0xbe8c1d8e, v21
	v_fmac_f32_e32 v54, 0x3f4c4adb, v24
	v_add_f32_e32 v24, v60, v38
	v_fmamk_f32 v38, v23, 0xbe8c1d8e, v61
	v_add_f32_e32 v26, v55, v26
	v_add_f32_e32 v25, v25, v27
	v_fmamk_f32 v27, v20, 0x3f763a35, v22
	v_mul_f32_e32 v55, 0x3f06c442, v58
	v_fmac_f32_e32 v22, 0xbf763a35, v20
	v_add_f32_e32 v29, v38, v29
	v_fma_f32 v38, 0xbe8c1d8e, v23, -v61
	v_add_f32_e32 v27, v27, v28
	v_fmamk_f32 v28, v23, 0xbf59a7d5, v55
	v_mul_f32_e32 v60, 0xbf59a7d5, v21
	v_add_f32_e32 v22, v22, v30
	v_mul_f32_e32 v30, 0x3f2c7751, v58
	v_add_f32_e32 v34, v38, v34
	v_add_f32_e32 v28, v28, v31
	v_fmamk_f32 v31, v20, 0xbf06c442, v60
	v_fma_f32 v38, 0xbf59a7d5, v23, -v55
	v_fmamk_f32 v55, v23, 0x3f3d2fb0, v30
	v_mul_f32_e32 v61, 0x3f3d2fb0, v21
	v_fmac_f32_e32 v60, 0x3f06c442, v20
	v_add_f32_e32 v31, v31, v36
	v_add_f32_e32 v32, v38, v32
	;; [unrolled: 1-line block ×3, first 2 shown]
	v_fmamk_f32 v38, v20, 0xbf2c7751, v61
	v_mul_f32_e32 v42, 0xbf65296c, v58
	v_fma_f32 v30, 0x3f3d2fb0, v23, -v30
	v_fmac_f32_e32 v61, 0x3f2c7751, v20
	v_mul_f32_e32 v55, 0x3ee437d1, v21
	v_add_f32_e32 v33, v60, v33
	v_add_f32_e32 v37, v38, v37
	v_fmamk_f32 v38, v23, 0x3ee437d1, v42
	v_add_f32_e32 v30, v30, v35
	v_add_f32_e32 v35, v61, v40
	v_fmamk_f32 v40, v20, 0x3f65296c, v55
	v_mul_f32_e32 v60, 0xbe3c28d5, v58
	v_fma_f32 v42, 0x3ee437d1, v23, -v42
	v_fmac_f32_e32 v55, 0xbf65296c, v20
	v_add_f32_e32 v38, v38, v45
	v_add_f32_e32 v40, v40, v44
	v_fmamk_f32 v44, v23, 0xbf7ba420, v60
	v_mul_f32_e32 v45, 0xbf7ba420, v21
	v_add_f32_e32 v39, v42, v39
	v_add_f32_e32 v42, v55, v43
	v_mul_f32_e32 v43, 0x3f7ee86f, v58
	v_add_f32_e32 v44, v44, v46
	v_fmamk_f32 v46, v20, 0x3e3c28d5, v45
	v_fma_f32 v55, 0xbf7ba420, v23, -v60
	v_fmac_f32_e32 v45, 0xbe3c28d5, v20
	v_fmamk_f32 v60, v23, 0x3dbcf732, v43
	v_mul_f32_e32 v61, 0x3dbcf732, v21
	v_add_f32_e32 v46, v46, v50
	v_add_f32_e32 v41, v55, v41
	;; [unrolled: 1-line block ×4, first 2 shown]
	v_fmamk_f32 v50, v20, 0xbf7ee86f, v61
	v_mul_f32_e32 v51, 0xbeb8f4ab, v58
	v_fma_f32 v43, 0x3dbcf732, v23, -v43
	v_mul_f32_e32 v55, 0x3f6eb680, v21
	v_mul_f32_e32 v58, 0xbf4c4adb, v58
	v_add_f32_e32 v48, v50, v48
	v_fmamk_f32 v50, v23, 0x3f6eb680, v51
	v_fma_f32 v51, 0x3f6eb680, v23, -v51
	v_add_f32_e32 v54, v54, v62
	v_add_f32_e32 v43, v43, v49
	v_fmamk_f32 v49, v20, 0x3eb8f4ab, v55
	v_add_f32_e32 v50, v50, v57
	v_fmac_f32_e32 v55, 0xbeb8f4ab, v20
	v_fmamk_f32 v57, v23, 0xbf1a4643, v58
	v_add_f32_e32 v51, v51, v52
	v_sub_f32_e32 v52, v17, v19
	v_add_f32_e32 v49, v49, v59
	v_mul_f32_e32 v21, 0xbf1a4643, v21
	v_add_f32_e32 v54, v55, v54
	v_add_f32_e32 v55, v57, v56
	;; [unrolled: 1-line block ×3, first 2 shown]
	v_mul_f32_e32 v59, 0xbf4c4adb, v52
	v_add_f32_e32 v17, v17, v19
	v_fmac_f32_e32 v61, 0x3f7ee86f, v20
	v_fmamk_f32 v56, v20, 0x3f4c4adb, v21
	v_fma_f32 v19, 0xbf1a4643, v23, -v58
	v_fmac_f32_e32 v21, 0xbf4c4adb, v20
	v_sub_f32_e32 v16, v16, v18
	v_fmamk_f32 v18, v57, 0xbf1a4643, v59
	v_mul_f32_e32 v20, 0xbf1a4643, v17
	v_add_f32_e32 v23, v56, v24
	v_add_f32_e32 v19, v19, v26
	v_add_f32_e32 v21, v21, v25
	v_add_f32_e32 v18, v18, v29
	v_fmamk_f32 v24, v16, 0x3f4c4adb, v20
	v_mul_f32_e32 v25, 0x3f763a35, v52
	v_fma_f32 v26, 0xbf1a4643, v57, -v59
	v_fmac_f32_e32 v20, 0xbf4c4adb, v16
	v_mul_f32_e32 v29, 0xbe8c1d8e, v17
	v_add_f32_e32 v24, v24, v27
	v_fmamk_f32 v27, v57, 0xbe8c1d8e, v25
	v_add_f32_e32 v26, v26, v34
	v_add_f32_e32 v20, v20, v22
	v_fmamk_f32 v22, v16, 0xbf763a35, v29
	v_mul_f32_e32 v34, 0xbeb8f4ab, v52
	v_fma_f32 v25, 0xbe8c1d8e, v57, -v25
	v_add_f32_e32 v27, v27, v28
	v_fmac_f32_e32 v29, 0x3f763a35, v16
	v_add_f32_e32 v22, v22, v31
	v_fmamk_f32 v28, v57, 0x3f6eb680, v34
	v_mul_f32_e32 v31, 0x3f6eb680, v17
	v_add_f32_e32 v25, v25, v32
	v_mul_f32_e32 v32, 0xbf06c442, v52
	v_add_f32_e32 v29, v29, v33
	v_add_f32_e32 v28, v28, v36
	v_fmamk_f32 v33, v16, 0x3eb8f4ab, v31
	v_fma_f32 v34, 0x3f6eb680, v57, -v34
	v_fmac_f32_e32 v31, 0xbeb8f4ab, v16
	v_fmamk_f32 v36, v57, 0xbf59a7d5, v32
	v_mul_f32_e32 v56, 0xbf59a7d5, v17
	v_add_f32_e32 v33, v33, v37
	v_add_f32_e32 v30, v34, v30
	;; [unrolled: 1-line block ×4, first 2 shown]
	v_fmamk_f32 v35, v16, 0x3f06c442, v56
	v_mul_f32_e32 v36, 0x3f7ee86f, v52
	v_fma_f32 v32, 0xbf59a7d5, v57, -v32
	v_fmac_f32_e32 v56, 0xbf06c442, v16
	v_mul_f32_e32 v37, 0x3dbcf732, v17
	v_add_f32_e32 v35, v35, v40
	v_fmamk_f32 v38, v57, 0x3dbcf732, v36
	v_add_f32_e32 v32, v32, v39
	v_add_f32_e32 v39, v56, v42
	v_fmamk_f32 v40, v16, 0xbf7ee86f, v37
	v_mul_f32_e32 v42, 0xbf2c7751, v52
	v_fma_f32 v36, 0x3dbcf732, v57, -v36
	v_add_f32_e32 v38, v38, v44
	v_fmac_f32_e32 v37, 0x3f7ee86f, v16
	v_add_f32_e32 v40, v40, v46
	v_fmamk_f32 v44, v57, 0x3f3d2fb0, v42
	v_mul_f32_e32 v46, 0x3f3d2fb0, v17
	v_add_f32_e32 v36, v36, v41
	v_mul_f32_e32 v41, 0xbe3c28d5, v52
	v_add_f32_e32 v53, v61, v53
	v_add_f32_e32 v37, v37, v45
	;; [unrolled: 1-line block ×3, first 2 shown]
	v_fmamk_f32 v45, v16, 0x3f2c7751, v46
	v_fma_f32 v42, 0x3f3d2fb0, v57, -v42
	v_fmac_f32_e32 v46, 0xbf2c7751, v16
	v_fmamk_f32 v47, v57, 0xbf7ba420, v41
	v_mul_f32_e32 v56, 0xbf7ba420, v17
	v_mul_f32_e32 v17, 0x3ee437d1, v17
	v_add_f32_e32 v45, v45, v48
	v_add_f32_e32 v42, v42, v43
	;; [unrolled: 1-line block ×4, first 2 shown]
	v_fmamk_f32 v47, v16, 0x3e3c28d5, v56
	v_mul_f32_e32 v48, 0x3f65296c, v52
	v_fmamk_f32 v50, v16, 0xbf65296c, v17
	v_sub_f32_e32 v52, v13, v15
	v_add_f32_e32 v13, v13, v15
	v_add_f32_e32 v47, v47, v49
	v_fmamk_f32 v49, v57, 0x3ee437d1, v48
	v_add_f32_e32 v23, v50, v23
	v_add_f32_e32 v50, v12, v14
	v_mul_f32_e32 v15, 0xbf06c442, v52
	v_fma_f32 v48, 0x3ee437d1, v57, -v48
	v_fmac_f32_e32 v17, 0x3f65296c, v16
	v_sub_f32_e32 v12, v12, v14
	v_mul_f32_e32 v14, 0xbf59a7d5, v13
	v_fmac_f32_e32 v56, 0xbe3c28d5, v16
	v_fmamk_f32 v16, v50, 0xbf59a7d5, v15
	v_add_f32_e32 v19, v48, v19
	v_add_f32_e32 v17, v17, v21
	v_mul_f32_e32 v21, 0x3f65296c, v52
	v_fmamk_f32 v48, v12, 0x3f06c442, v14
	v_add_f32_e32 v16, v16, v18
	v_fma_f32 v15, 0xbf59a7d5, v50, -v15
	v_fmac_f32_e32 v14, 0xbf06c442, v12
	v_fmamk_f32 v18, v50, 0x3ee437d1, v21
	v_add_f32_e32 v24, v48, v24
	v_mul_f32_e32 v48, 0x3ee437d1, v13
	v_add_f32_e32 v15, v15, v26
	v_add_f32_e32 v14, v14, v20
	v_add_f32_e32 v18, v18, v27
	v_mul_f32_e32 v27, 0x3dbcf732, v13
	v_fmamk_f32 v26, v12, 0xbf65296c, v48
	v_mul_f32_e32 v20, 0xbf7ee86f, v52
	v_fma_f32 v21, 0x3ee437d1, v50, -v21
	v_fmac_f32_e32 v48, 0x3f65296c, v12
	v_fma_f32 v41, 0xbf7ba420, v57, -v41
	v_add_f32_e32 v22, v26, v22
	v_fmamk_f32 v26, v12, 0x3f7ee86f, v27
	v_fmamk_f32 v53, v50, 0x3dbcf732, v20
	v_add_f32_e32 v21, v21, v25
	v_add_f32_e32 v25, v48, v29
	v_mul_f32_e32 v29, 0x3f4c4adb, v52
	v_fma_f32 v20, 0x3dbcf732, v50, -v20
	v_fmac_f32_e32 v27, 0xbf7ee86f, v12
	v_add_f32_e32 v26, v26, v33
	v_mul_f32_e32 v33, 0xbf1a4643, v13
	v_fmamk_f32 v48, v50, 0xbf1a4643, v29
	v_add_f32_e32 v20, v20, v30
	v_add_f32_e32 v27, v27, v31
	v_mul_f32_e32 v30, 0xbeb8f4ab, v52
	v_fmamk_f32 v31, v12, 0xbf4c4adb, v33
	v_add_f32_e32 v34, v48, v34
	v_fma_f32 v29, 0xbf1a4643, v50, -v29
	v_fmac_f32_e32 v33, 0x3f4c4adb, v12
	v_fmamk_f32 v48, v50, 0x3f6eb680, v30
	v_add_f32_e32 v31, v31, v35
	v_mul_f32_e32 v35, 0x3f6eb680, v13
	v_add_f32_e32 v29, v29, v32
	v_add_f32_e32 v32, v33, v39
	;; [unrolled: 1-line block ×3, first 2 shown]
	v_mul_f32_e32 v38, 0xbe3c28d5, v52
	v_fmamk_f32 v39, v12, 0x3eb8f4ab, v35
	v_fma_f32 v30, 0x3f6eb680, v50, -v30
	v_mul_f32_e32 v48, 0xbf7ba420, v13
	v_add_f32_e32 v28, v53, v28
	v_fmac_f32_e32 v35, 0xbeb8f4ab, v12
	v_fmamk_f32 v53, v50, 0xbf7ba420, v38
	v_add_f32_e32 v39, v39, v40
	v_add_f32_e32 v30, v30, v36
	v_fmamk_f32 v36, v12, 0x3e3c28d5, v48
	v_mul_f32_e32 v40, 0x3f2c7751, v52
	v_fma_f32 v38, 0xbf7ba420, v50, -v38
	v_fmac_f32_e32 v48, 0xbe3c28d5, v12
	v_add_f32_e32 v35, v35, v37
	v_add_f32_e32 v37, v53, v44
	;; [unrolled: 1-line block ×3, first 2 shown]
	v_mul_f32_e32 v44, 0x3f3d2fb0, v13
	v_fmamk_f32 v45, v50, 0x3f3d2fb0, v40
	v_add_f32_e32 v38, v38, v42
	v_add_f32_e32 v42, v48, v43
	v_mul_f32_e32 v43, 0xbf763a35, v52
	v_add_f32_e32 v41, v41, v51
	v_add_f32_e32 v51, v56, v54
	;; [unrolled: 1-line block ×3, first 2 shown]
	v_fmamk_f32 v48, v12, 0xbf2c7751, v44
	v_add_f32_e32 v45, v45, v46
	v_fma_f32 v40, 0x3f3d2fb0, v50, -v40
	v_fmac_f32_e32 v44, 0x3f2c7751, v12
	v_fmamk_f32 v46, v50, 0xbe8c1d8e, v43
	v_mul_f32_e32 v13, 0xbe8c1d8e, v13
	v_fma_f32 v43, 0xbe8c1d8e, v50, -v43
	v_add_f32_e32 v40, v40, v41
	v_add_f32_e32 v41, v44, v51
	;; [unrolled: 1-line block ×3, first 2 shown]
	v_sub_f32_e32 v46, v10, v11
	v_add_f32_e32 v49, v10, v11
	v_add_f32_e32 v50, v8, v9
	;; [unrolled: 1-line block ×3, first 2 shown]
	v_fmamk_f32 v48, v12, 0x3f763a35, v13
	v_mul_f32_e32 v10, 0xbe3c28d5, v46
	v_fmac_f32_e32 v13, 0xbf763a35, v12
	v_sub_f32_e32 v51, v8, v9
	v_mul_f32_e32 v11, 0xbf7ba420, v49
	v_add_f32_e32 v43, v43, v19
	v_fmamk_f32 v8, v50, 0xbf7ba420, v10
	v_add_f32_e32 v52, v13, v17
	v_mul_f32_e32 v13, 0x3eb8f4ab, v46
	v_fmamk_f32 v9, v51, 0x3e3c28d5, v11
	v_fma_f32 v10, 0xbf7ba420, v50, -v10
	v_add_f32_e32 v8, v8, v16
	v_fmac_f32_e32 v11, 0xbe3c28d5, v51
	v_mul_f32_e32 v16, 0x3f6eb680, v49
	v_fmamk_f32 v12, v50, 0x3f6eb680, v13
	v_add_f32_e32 v10, v10, v15
	v_mul_f32_e32 v17, 0xbf06c442, v46
	v_add_f32_e32 v11, v11, v14
	v_fmamk_f32 v14, v51, 0xbeb8f4ab, v16
	v_fma_f32 v15, 0x3f6eb680, v50, -v13
	v_add_f32_e32 v12, v12, v18
	v_fmac_f32_e32 v16, 0x3eb8f4ab, v51
	v_fmamk_f32 v18, v50, 0xbf59a7d5, v17
	v_mul_f32_e32 v19, 0xbf59a7d5, v49
	v_add_f32_e32 v13, v14, v22
	v_add_f32_e32 v14, v15, v21
	v_mul_f32_e32 v21, 0x3f2c7751, v46
	v_add_f32_e32 v48, v48, v23
	v_add_f32_e32 v9, v9, v24
	;; [unrolled: 1-line block ×4, first 2 shown]
	v_fmamk_f32 v18, v51, 0x3f06c442, v19
	v_fma_f32 v22, 0xbf59a7d5, v50, -v17
	v_mul_f32_e32 v23, 0x3f3d2fb0, v49
	v_fmamk_f32 v24, v50, 0x3f3d2fb0, v21
	v_fmac_f32_e32 v19, 0xbf06c442, v51
	v_add_f32_e32 v17, v18, v26
	v_add_f32_e32 v18, v22, v20
	v_fmamk_f32 v22, v51, 0xbf2c7751, v23
	v_mul_f32_e32 v25, 0xbf4c4adb, v46
	v_add_f32_e32 v20, v24, v34
	v_fma_f32 v24, 0x3f3d2fb0, v50, -v21
	v_add_f32_e32 v19, v19, v27
	v_fmac_f32_e32 v23, 0x3f2c7751, v51
	v_add_f32_e32 v21, v22, v31
	v_fmamk_f32 v26, v50, 0xbf1a4643, v25
	v_mul_f32_e32 v27, 0xbf1a4643, v49
	v_add_f32_e32 v22, v24, v29
	v_mul_f32_e32 v29, 0x3f65296c, v46
	v_add_f32_e32 v23, v23, v32
	v_add_f32_e32 v24, v26, v33
	v_fmamk_f32 v26, v51, 0x3f4c4adb, v27
	v_fma_f32 v28, 0xbf1a4643, v50, -v25
	v_fmac_f32_e32 v27, 0xbf4c4adb, v51
	v_fmamk_f32 v31, v50, 0x3ee437d1, v29
	v_mul_f32_e32 v32, 0x3ee437d1, v49
	v_add_f32_e32 v25, v26, v39
	v_add_f32_e32 v26, v28, v30
	;; [unrolled: 1-line block ×4, first 2 shown]
	v_fmamk_f32 v30, v51, 0xbf65296c, v32
	v_mul_f32_e32 v33, 0xbf763a35, v46
	v_fma_f32 v31, 0x3ee437d1, v50, -v29
	v_mul_f32_e32 v35, 0xbe8c1d8e, v49
	v_fmac_f32_e32 v32, 0x3f65296c, v51
	v_add_f32_e32 v29, v30, v36
	v_fmamk_f32 v34, v50, 0xbe8c1d8e, v33
	v_add_f32_e32 v30, v31, v38
	v_fmamk_f32 v36, v51, 0x3f763a35, v35
	v_fma_f32 v37, 0xbe8c1d8e, v50, -v33
	v_mul_f32_e32 v38, 0x3f7ee86f, v46
	v_mul_f32_e32 v39, 0x3dbcf732, v49
	v_add_f32_e32 v31, v32, v42
	v_add_f32_e32 v32, v34, v45
	v_add_f32_e32 v33, v36, v47
	v_add_f32_e32 v34, v37, v40
	v_fmamk_f32 v36, v50, 0x3dbcf732, v38
	v_fmamk_f32 v37, v51, 0xbf7ee86f, v39
	v_fma_f32 v38, 0x3dbcf732, v50, -v38
	v_fmac_f32_e32 v39, 0x3f7ee86f, v51
	v_fmac_f32_e32 v35, 0xbf763a35, v51
	v_add_f32_e32 v36, v36, v44
	v_add_f32_e32 v37, v37, v48
	;; [unrolled: 1-line block ×5, first 2 shown]
	ds_write2_b64 v139, v[0:1], v[8:9] offset1:85
	ds_write2_b64 v139, v[12:13], v[16:17] offset0:170 offset1:255
	ds_write2_b64 v7, v[20:21], v[24:25] offset0:84 offset1:169
	;; [unrolled: 1-line block ×7, first 2 shown]
	ds_write_b64 v139, v[10:11] offset:10880
	s_waitcnt lgkmcnt(0)
	s_barrier
	buffer_gl0_inv
	ds_read2_b64 v[8:11], v139 offset1:85
	v_mad_u64_u32 v[16:17], null, s10, v98, 0
	v_mad_u64_u32 v[20:21], null, s8, v140, 0
	s_waitcnt lgkmcnt(0)
	v_mul_f32_e32 v0, v112, v9
	v_mul_f32_e32 v1, v112, v8
	;; [unrolled: 1-line block ×4, first 2 shown]
	v_fmac_f32_e32 v0, v111, v8
	v_fma_f32 v8, v111, v9, -v1
	v_fmac_f32_e32 v13, v109, v10
	v_fma_f32 v14, v109, v11, -v12
	v_mov_b32_e32 v12, v17
	v_cvt_f64_f32_e32 v[0:1], v0
	v_cvt_f64_f32_e32 v[8:9], v8
	;; [unrolled: 1-line block ×3, first 2 shown]
	v_mov_b32_e32 v13, v21
	v_cvt_f64_f32_e32 v[24:25], v14
	v_mad_u64_u32 v[26:27], null, s11, v98, v[12:13]
	v_mad_u64_u32 v[27:28], null, s9, v140, v[13:14]
	ds_read2_b64 v[12:15], v7 offset0:84 offset1:169
	v_mov_b32_e32 v17, v26
	v_mov_b32_e32 v21, v27
	v_lshlrev_b64 v[16:17], 3, v[16:17]
	v_mul_f64 v[0:1], v[0:1], s[0:1]
	v_mul_f64 v[18:19], v[8:9], s[0:1]
	ds_read2_b64 v[8:11], v139 offset0:170 offset1:255
	v_add_co_u32 v16, vcc_lo, s4, v16
	v_add_co_ci_u32_e32 v17, vcc_lo, s5, v17, vcc_lo
	s_waitcnt lgkmcnt(1)
	v_mul_f32_e32 v30, v126, v13
	v_fmac_f32_e32 v30, v125, v12
	v_cvt_f64_f32_e32 v[30:31], v30
	s_waitcnt lgkmcnt(0)
	v_mul_f32_e32 v7, v104, v9
	v_cvt_f32_f64_e32 v0, v[0:1]
	v_cvt_f32_f64_e32 v1, v[18:19]
	v_lshlrev_b64 v[18:19], 3, v[20:21]
	v_mul_f64 v[20:21], v[22:23], s[0:1]
	v_fmac_f32_e32 v7, v103, v8
	v_mul_f32_e32 v8, v104, v8
	v_mul_f64 v[22:23], v[24:25], s[0:1]
	v_mul_f32_e32 v26, v108, v11
	v_mul_f32_e32 v27, v108, v10
	v_cvt_f64_f32_e32 v[24:25], v7
	v_fma_f32 v7, v103, v9, -v8
	v_mul_f32_e32 v9, v126, v12
	v_fmac_f32_e32 v26, v107, v10
	v_fma_f32 v8, v107, v11, -v27
	v_add_co_u32 v16, vcc_lo, v16, v18
	v_cvt_f64_f32_e32 v[10:11], v7
	v_fma_f32 v7, v125, v13, -v9
	v_cvt_f64_f32_e32 v[26:27], v26
	v_cvt_f64_f32_e32 v[28:29], v8
	v_add_co_ci_u32_e32 v17, vcc_lo, v17, v19, vcc_lo
	v_cvt_f64_f32_e32 v[12:13], v7
	ds_read2_b64 v[6:9], v6 offset0:126 offset1:211
	global_store_dwordx2 v[16:17], v[0:1], off
	v_cvt_f32_f64_e32 v0, v[20:21]
	v_add_co_u32 v16, vcc_lo, v16, s3
	v_cvt_f32_f64_e32 v1, v[22:23]
	v_add_co_ci_u32_e32 v17, vcc_lo, s2, v17, vcc_lo
	v_mul_f64 v[18:19], v[24:25], s[0:1]
	v_mul_f64 v[20:21], v[10:11], s[0:1]
	v_mul_f32_e32 v10, v124, v15
	v_mul_f32_e32 v11, v124, v14
	v_mul_f64 v[22:23], v[26:27], s[0:1]
	v_mul_f64 v[24:25], v[28:29], s[0:1]
	v_mul_f64 v[26:27], v[30:31], s[0:1]
	s_waitcnt lgkmcnt(0)
	v_mul_f32_e32 v30, v122, v7
	v_mul_f64 v[28:29], v[12:13], s[0:1]
	v_mul_f32_e32 v12, v122, v6
	v_fmac_f32_e32 v10, v123, v14
	v_fma_f32 v11, v123, v15, -v11
	v_fmac_f32_e32 v30, v121, v6
	v_mul_f32_e32 v34, v120, v8
	v_fma_f32 v12, v121, v7, -v12
	v_cvt_f64_f32_e32 v[6:7], v10
	v_cvt_f64_f32_e32 v[14:15], v11
	;; [unrolled: 1-line block ×3, first 2 shown]
	v_cvt_f32_f64_e32 v18, v[18:19]
	v_cvt_f64_f32_e32 v[32:33], v12
	ds_read2_b64 v[10:13], v5 offset0:168 offset1:253
	v_mul_f32_e32 v5, v120, v9
	v_cvt_f32_f64_e32 v19, v[20:21]
	v_add_co_u32 v20, vcc_lo, v16, s3
	v_cvt_f32_f64_e32 v22, v[22:23]
	v_cvt_f32_f64_e32 v23, v[24:25]
	;; [unrolled: 1-line block ×3, first 2 shown]
	v_fmac_f32_e32 v5, v119, v8
	v_cvt_f32_f64_e32 v25, v[28:29]
	v_add_co_ci_u32_e32 v21, vcc_lo, s2, v17, vcc_lo
	v_mul_f64 v[26:27], v[6:7], s[0:1]
	v_mul_f64 v[14:15], v[14:15], s[0:1]
	v_fma_f32 v6, v119, v9, -v34
	s_waitcnt lgkmcnt(0)
	v_mul_f32_e32 v7, v118, v11
	v_mul_f32_e32 v34, v118, v10
	v_mul_f64 v[28:29], v[30:31], s[0:1]
	v_cvt_f64_f32_e32 v[30:31], v5
	v_mul_f64 v[8:9], v[32:33], s[0:1]
	v_fmac_f32_e32 v7, v117, v10
	v_fma_f32 v5, v117, v11, -v34
	v_add_co_u32 v10, vcc_lo, v20, s3
	v_cvt_f64_f32_e32 v[32:33], v6
	v_cvt_f64_f32_e32 v[34:35], v7
	v_cvt_f64_f32_e32 v[36:37], v5
	ds_read2_b64 v[4:7], v4 offset0:82 offset1:167
	v_add_co_ci_u32_e32 v11, vcc_lo, s2, v21, vcc_lo
	v_add_co_u32 v38, vcc_lo, v10, s3
	v_add_co_ci_u32_e32 v39, vcc_lo, s2, v11, vcc_lo
	global_store_dwordx2 v[16:17], v[0:1], off
	global_store_dwordx2 v[20:21], v[18:19], off
	global_store_dwordx2 v[10:11], v[22:23], off
	global_store_dwordx2 v[38:39], v[24:25], off
	v_cvt_f32_f64_e32 v0, v[26:27]
	v_cvt_f32_f64_e32 v1, v[14:15]
	v_mul_f32_e32 v24, v114, v13
	v_cvt_f32_f64_e32 v10, v[28:29]
	v_add_co_u32 v16, vcc_lo, v38, s3
	v_cvt_f32_f64_e32 v11, v[8:9]
	v_fmac_f32_e32 v24, v113, v12
	v_mul_f32_e32 v12, v114, v12
	v_mul_f64 v[8:9], v[30:31], s[0:1]
	v_mul_f64 v[14:15], v[32:33], s[0:1]
	s_waitcnt lgkmcnt(0)
	v_mul_f32_e32 v25, v116, v5
	v_mul_f32_e32 v26, v116, v4
	v_add_co_ci_u32_e32 v17, vcc_lo, s2, v39, vcc_lo
	v_fma_f32 v27, v113, v13, -v12
	v_cvt_f64_f32_e32 v[12:13], v24
	v_fmac_f32_e32 v25, v115, v4
	v_fma_f32 v24, v115, v5, -v26
	v_add_co_u32 v22, vcc_lo, v16, s3
	v_add_co_ci_u32_e32 v23, vcc_lo, s2, v17, vcc_lo
	global_store_dwordx2 v[16:17], v[0:1], off
	v_cvt_f64_f32_e32 v[16:17], v25
	v_cvt_f64_f32_e32 v[24:25], v24
	;; [unrolled: 1-line block ×3, first 2 shown]
	v_mul_f64 v[18:19], v[34:35], s[0:1]
	global_store_dwordx2 v[22:23], v[10:11], off
	v_mul_f64 v[20:21], v[36:37], s[0:1]
	v_cvt_f32_f64_e32 v26, v[8:9]
	v_cvt_f32_f64_e32 v27, v[14:15]
	ds_read2_b64 v[8:11], v3 offset0:124 offset1:209
	v_add_co_u32 v14, vcc_lo, v22, s3
	ds_read2_b64 v[0:3], v2 offset0:166 offset1:251
	v_add_co_ci_u32_e32 v15, vcc_lo, s2, v23, vcc_lo
	v_mul_f32_e32 v22, v106, v7
	v_mul_f32_e32 v23, v106, v6
	v_mul_f64 v[12:13], v[12:13], s[0:1]
	v_fmac_f32_e32 v22, v105, v6
	v_fma_f32 v28, v105, v7, -v23
	v_mul_f64 v[6:7], v[16:17], s[0:1]
	v_mul_f64 v[16:17], v[24:25], s[0:1]
	ds_read_b64 v[24:25], v139 offset:10880
	v_mul_f64 v[4:5], v[4:5], s[0:1]
	v_cvt_f64_f32_e32 v[22:23], v22
	v_cvt_f64_f32_e32 v[28:29], v28
	v_cvt_f32_f64_e32 v18, v[18:19]
	s_waitcnt lgkmcnt(2)
	v_mul_f32_e32 v30, v95, v9
	v_mul_f32_e32 v31, v95, v8
	;; [unrolled: 1-line block ×3, first 2 shown]
	s_waitcnt lgkmcnt(1)
	v_mul_f32_e32 v34, v93, v1
	v_mul_f32_e32 v33, v97, v10
	;; [unrolled: 1-line block ×4, first 2 shown]
	v_fmac_f32_e32 v30, v94, v8
	v_fmac_f32_e32 v34, v92, v0
	v_mul_f32_e32 v0, v93, v0
	v_fma_f32 v31, v94, v9, -v31
	v_cvt_f32_f64_e32 v19, v[20:21]
	v_fmac_f32_e32 v32, v96, v10
	v_fma_f32 v33, v96, v11, -v33
	v_fma_f32 v0, v92, v1, -v0
	s_waitcnt lgkmcnt(0)
	v_mul_f32_e32 v38, v102, v25
	v_mul_f32_e32 v39, v102, v24
	v_fmac_f32_e32 v36, v99, v2
	v_fma_f32 v37, v99, v3, -v37
	v_cvt_f64_f32_e32 v[8:9], v30
	v_cvt_f64_f32_e32 v[10:11], v31
	v_fmac_f32_e32 v38, v101, v24
	v_fma_f32 v39, v101, v25, -v39
	v_cvt_f64_f32_e32 v[30:31], v32
	v_cvt_f64_f32_e32 v[32:33], v33
	;; [unrolled: 1-line block ×8, first 2 shown]
	v_add_co_u32 v20, vcc_lo, v14, s3
	v_add_co_ci_u32_e32 v21, vcc_lo, s2, v15, vcc_lo
	global_store_dwordx2 v[14:15], v[26:27], off
	global_store_dwordx2 v[20:21], v[18:19], off
	v_cvt_f32_f64_e32 v12, v[12:13]
	v_cvt_f32_f64_e32 v13, v[4:5]
	v_mul_f64 v[4:5], v[22:23], s[0:1]
	v_mul_f64 v[14:15], v[28:29], s[0:1]
	v_add_co_u32 v18, vcc_lo, v20, s3
	v_mul_f64 v[8:9], v[8:9], s[0:1]
	v_mul_f64 v[10:11], v[10:11], s[0:1]
	v_add_co_ci_u32_e32 v19, vcc_lo, s2, v21, vcc_lo
	v_cvt_f32_f64_e32 v6, v[6:7]
	v_cvt_f32_f64_e32 v7, v[16:17]
	v_mul_f64 v[16:17], v[30:31], s[0:1]
	v_mul_f64 v[20:21], v[32:33], s[0:1]
	;; [unrolled: 1-line block ×8, first 2 shown]
	v_add_co_u32 v30, vcc_lo, v18, s3
	v_add_co_ci_u32_e32 v31, vcc_lo, s2, v19, vcc_lo
	v_cvt_f32_f64_e32 v4, v[4:5]
	v_cvt_f32_f64_e32 v5, v[14:15]
	v_add_co_u32 v14, vcc_lo, v30, s3
	v_add_co_ci_u32_e32 v15, vcc_lo, s2, v31, vcc_lo
	v_cvt_f32_f64_e32 v8, v[8:9]
	v_cvt_f32_f64_e32 v9, v[10:11]
	;; [unrolled: 4-line block ×3, first 2 shown]
	v_cvt_f32_f64_e32 v20, v[22:23]
	v_cvt_f32_f64_e32 v21, v[0:1]
	;; [unrolled: 1-line block ×6, first 2 shown]
	v_add_co_u32 v22, vcc_lo, v10, s3
	v_add_co_ci_u32_e32 v23, vcc_lo, s2, v11, vcc_lo
	global_store_dwordx2 v[18:19], v[12:13], off
	v_add_co_u32 v12, vcc_lo, v22, s3
	v_add_co_ci_u32_e32 v13, vcc_lo, s2, v23, vcc_lo
	global_store_dwordx2 v[30:31], v[6:7], off
	;; [unrolled: 3-line block ×4, first 2 shown]
	global_store_dwordx2 v[22:23], v[16:17], off
	global_store_dwordx2 v[12:13], v[20:21], off
	;; [unrolled: 1-line block ×4, first 2 shown]
.LBB0_10:
	s_endpgm
	.section	.rodata,"a",@progbits
	.p2align	6, 0x0
	.amdhsa_kernel bluestein_single_back_len1445_dim1_sp_op_CI_CI
		.amdhsa_group_segment_fixed_size 11560
		.amdhsa_private_segment_fixed_size 0
		.amdhsa_kernarg_size 104
		.amdhsa_user_sgpr_count 6
		.amdhsa_user_sgpr_private_segment_buffer 1
		.amdhsa_user_sgpr_dispatch_ptr 0
		.amdhsa_user_sgpr_queue_ptr 0
		.amdhsa_user_sgpr_kernarg_segment_ptr 1
		.amdhsa_user_sgpr_dispatch_id 0
		.amdhsa_user_sgpr_flat_scratch_init 0
		.amdhsa_user_sgpr_private_segment_size 0
		.amdhsa_wavefront_size32 1
		.amdhsa_uses_dynamic_stack 0
		.amdhsa_system_sgpr_private_segment_wavefront_offset 0
		.amdhsa_system_sgpr_workgroup_id_x 1
		.amdhsa_system_sgpr_workgroup_id_y 0
		.amdhsa_system_sgpr_workgroup_id_z 0
		.amdhsa_system_sgpr_workgroup_info 0
		.amdhsa_system_vgpr_workitem_id 0
		.amdhsa_next_free_vgpr 189
		.amdhsa_next_free_sgpr 20
		.amdhsa_reserve_vcc 1
		.amdhsa_reserve_flat_scratch 0
		.amdhsa_float_round_mode_32 0
		.amdhsa_float_round_mode_16_64 0
		.amdhsa_float_denorm_mode_32 3
		.amdhsa_float_denorm_mode_16_64 3
		.amdhsa_dx10_clamp 1
		.amdhsa_ieee_mode 1
		.amdhsa_fp16_overflow 0
		.amdhsa_workgroup_processor_mode 1
		.amdhsa_memory_ordered 1
		.amdhsa_forward_progress 0
		.amdhsa_shared_vgpr_count 0
		.amdhsa_exception_fp_ieee_invalid_op 0
		.amdhsa_exception_fp_denorm_src 0
		.amdhsa_exception_fp_ieee_div_zero 0
		.amdhsa_exception_fp_ieee_overflow 0
		.amdhsa_exception_fp_ieee_underflow 0
		.amdhsa_exception_fp_ieee_inexact 0
		.amdhsa_exception_int_div_zero 0
	.end_amdhsa_kernel
	.text
.Lfunc_end0:
	.size	bluestein_single_back_len1445_dim1_sp_op_CI_CI, .Lfunc_end0-bluestein_single_back_len1445_dim1_sp_op_CI_CI
                                        ; -- End function
	.section	.AMDGPU.csdata,"",@progbits
; Kernel info:
; codeLenInByte = 28496
; NumSgprs: 22
; NumVgprs: 189
; ScratchSize: 0
; MemoryBound: 0
; FloatMode: 240
; IeeeMode: 1
; LDSByteSize: 11560 bytes/workgroup (compile time only)
; SGPRBlocks: 2
; VGPRBlocks: 23
; NumSGPRsForWavesPerEU: 22
; NumVGPRsForWavesPerEU: 189
; Occupancy: 5
; WaveLimiterHint : 1
; COMPUTE_PGM_RSRC2:SCRATCH_EN: 0
; COMPUTE_PGM_RSRC2:USER_SGPR: 6
; COMPUTE_PGM_RSRC2:TRAP_HANDLER: 0
; COMPUTE_PGM_RSRC2:TGID_X_EN: 1
; COMPUTE_PGM_RSRC2:TGID_Y_EN: 0
; COMPUTE_PGM_RSRC2:TGID_Z_EN: 0
; COMPUTE_PGM_RSRC2:TIDIG_COMP_CNT: 0
	.text
	.p2alignl 6, 3214868480
	.fill 48, 4, 3214868480
	.type	__hip_cuid_a9ef694ec3c1187d,@object ; @__hip_cuid_a9ef694ec3c1187d
	.section	.bss,"aw",@nobits
	.globl	__hip_cuid_a9ef694ec3c1187d
__hip_cuid_a9ef694ec3c1187d:
	.byte	0                               ; 0x0
	.size	__hip_cuid_a9ef694ec3c1187d, 1

	.ident	"AMD clang version 19.0.0git (https://github.com/RadeonOpenCompute/llvm-project roc-6.4.0 25133 c7fe45cf4b819c5991fe208aaa96edf142730f1d)"
	.section	".note.GNU-stack","",@progbits
	.addrsig
	.addrsig_sym __hip_cuid_a9ef694ec3c1187d
	.amdgpu_metadata
---
amdhsa.kernels:
  - .args:
      - .actual_access:  read_only
        .address_space:  global
        .offset:         0
        .size:           8
        .value_kind:     global_buffer
      - .actual_access:  read_only
        .address_space:  global
        .offset:         8
        .size:           8
        .value_kind:     global_buffer
      - .actual_access:  read_only
        .address_space:  global
        .offset:         16
        .size:           8
        .value_kind:     global_buffer
      - .actual_access:  read_only
        .address_space:  global
        .offset:         24
        .size:           8
        .value_kind:     global_buffer
      - .actual_access:  read_only
        .address_space:  global
        .offset:         32
        .size:           8
        .value_kind:     global_buffer
      - .offset:         40
        .size:           8
        .value_kind:     by_value
      - .address_space:  global
        .offset:         48
        .size:           8
        .value_kind:     global_buffer
      - .address_space:  global
        .offset:         56
        .size:           8
        .value_kind:     global_buffer
      - .address_space:  global
        .offset:         64
        .size:           8
        .value_kind:     global_buffer
      - .address_space:  global
        .offset:         72
        .size:           8
        .value_kind:     global_buffer
      - .offset:         80
        .size:           4
        .value_kind:     by_value
      - .address_space:  global
        .offset:         88
        .size:           8
        .value_kind:     global_buffer
      - .address_space:  global
        .offset:         96
        .size:           8
        .value_kind:     global_buffer
    .group_segment_fixed_size: 11560
    .kernarg_segment_align: 8
    .kernarg_segment_size: 104
    .language:       OpenCL C
    .language_version:
      - 2
      - 0
    .max_flat_workgroup_size: 85
    .name:           bluestein_single_back_len1445_dim1_sp_op_CI_CI
    .private_segment_fixed_size: 0
    .sgpr_count:     22
    .sgpr_spill_count: 0
    .symbol:         bluestein_single_back_len1445_dim1_sp_op_CI_CI.kd
    .uniform_work_group_size: 1
    .uses_dynamic_stack: false
    .vgpr_count:     189
    .vgpr_spill_count: 0
    .wavefront_size: 32
    .workgroup_processor_mode: 1
amdhsa.target:   amdgcn-amd-amdhsa--gfx1030
amdhsa.version:
  - 1
  - 2
...

	.end_amdgpu_metadata
